;; amdgpu-corpus repo=ROCm/rocFFT kind=compiled arch=gfx1201 opt=O3
	.text
	.amdgcn_target "amdgcn-amd-amdhsa--gfx1201"
	.amdhsa_code_object_version 6
	.protected	bluestein_single_fwd_len1350_dim1_dp_op_CI_CI ; -- Begin function bluestein_single_fwd_len1350_dim1_dp_op_CI_CI
	.globl	bluestein_single_fwd_len1350_dim1_dp_op_CI_CI
	.p2align	8
	.type	bluestein_single_fwd_len1350_dim1_dp_op_CI_CI,@function
bluestein_single_fwd_len1350_dim1_dp_op_CI_CI: ; @bluestein_single_fwd_len1350_dim1_dp_op_CI_CI
; %bb.0:
	s_load_b128 s[8:11], s[0:1], 0x28
	v_mul_u32_u24_e32 v1, 0x1e6, v0
	s_mov_b32 s2, exec_lo
	v_mov_b32_e32 v5, 0
	s_delay_alu instid0(VALU_DEP_2) | instskip(NEXT) | instid1(VALU_DEP_1)
	v_lshrrev_b32_e32 v1, 16, v1
	v_add_nc_u32_e32 v4, ttmp9, v1
	s_wait_kmcnt 0x0
	s_delay_alu instid0(VALU_DEP_1)
	v_cmpx_gt_u64_e64 s[8:9], v[4:5]
	s_cbranch_execz .LBB0_26
; %bb.1:
	s_load_b128 s[4:7], s[0:1], 0x18
	v_mul_lo_u16 v1, 0x87, v1
	s_mov_b32 s16, 0x4755a5e
	s_mov_b32 s17, 0x3fe2cf23
	;; [unrolled: 1-line block ×4, first 2 shown]
	v_sub_nc_u16 v76, v0, v1
	s_delay_alu instid0(VALU_DEP_1) | instskip(NEXT) | instid1(VALU_DEP_1)
	v_and_b32_e32 v203, 0xffff, v76
	v_dual_mov_b32 v5, v4 :: v_dual_lshlrev_b32 v204, 4, v203
	scratch_store_b64 off, v[5:6], off      ; 8-byte Folded Spill
	v_add_co_u32 v201, s20, 0x87, v203
	s_wait_kmcnt 0x0
	s_load_b128 s[12:15], s[4:5], 0x0
	v_add_co_ci_u32_e64 v188, null, 0, 0, s20
	s_mov_b32 s20, 0x9b97f4a8
	s_mov_b32 s21, 0x3fe9e377
	s_wait_kmcnt 0x0
	v_mad_co_u64_u32 v[0:1], null, s14, v4, 0
	v_mad_co_u64_u32 v[2:3], null, s12, v203, 0
	s_mul_u64 s[2:3], s[12:13], 0x10e0
	s_mul_i32 s4, s13, 0xffffc4f0
	s_mov_b32 s14, s16
	s_sub_co_i32 s4, s4, s12
	s_delay_alu instid0(VALU_DEP_1) | instskip(SKIP_1) | instid1(VALU_DEP_1)
	v_mad_co_u64_u32 v[4:5], null, s15, v4, v[1:2]
	s_mov_b32 s15, 0xbfe2cf23
	v_mad_co_u64_u32 v[5:6], null, s13, v203, v[3:4]
	v_mov_b32_e32 v1, v4
	s_delay_alu instid0(VALU_DEP_1) | instskip(NEXT) | instid1(VALU_DEP_3)
	v_lshlrev_b64_e32 v[0:1], 4, v[0:1]
	v_mov_b32_e32 v3, v5
	s_delay_alu instid0(VALU_DEP_2) | instskip(NEXT) | instid1(VALU_DEP_2)
	v_add_co_u32 v0, vcc_lo, s10, v0
	v_lshlrev_b64_e32 v[2:3], 4, v[2:3]
	s_delay_alu instid0(VALU_DEP_4) | instskip(SKIP_1) | instid1(VALU_DEP_2)
	v_add_co_ci_u32_e32 v1, vcc_lo, s11, v1, vcc_lo
	s_load_b128 s[8:11], s[0:1], 0x0
	v_add_co_u32 v0, vcc_lo, v0, v2
	s_wait_alu 0xfffd
	s_delay_alu instid0(VALU_DEP_2) | instskip(NEXT) | instid1(VALU_DEP_2)
	v_add_co_ci_u32_e32 v1, vcc_lo, v1, v3, vcc_lo
	v_add_co_u32 v2, vcc_lo, v0, s2
	s_wait_alu 0xfffd
	s_delay_alu instid0(VALU_DEP_2) | instskip(NEXT) | instid1(VALU_DEP_2)
	v_add_co_ci_u32_e32 v3, vcc_lo, s3, v1, vcc_lo
	;; [unrolled: 4-line block ×3, first 2 shown]
	v_add_co_u32 v34, vcc_lo, v32, s2
	s_wait_alu 0xfffd
	s_delay_alu instid0(VALU_DEP_2)
	v_add_co_ci_u32_e32 v35, vcc_lo, s3, v33, vcc_lo
	s_wait_kmcnt 0x0
	global_load_b128 v[4:7], v204, s[8:9] offset:12960
	v_add_co_u32 v36, vcc_lo, v34, s2
	s_wait_alu 0xfffd
	v_add_co_ci_u32_e32 v37, vcc_lo, s3, v35, vcc_lo
	s_clause 0x6
	global_load_b128 v[8:11], v204, s[8:9] offset:17280
	global_load_b128 v[12:15], v204, s[8:9]
	global_load_b128 v[16:19], v204, s[8:9] offset:2160
	global_load_b128 v[20:23], v204, s[8:9] offset:4320
	;; [unrolled: 1-line block ×5, first 2 shown]
	v_mad_co_u64_u32 v[38:39], null, 0xffffc4f0, s12, v[36:37]
	s_clause 0x4
	global_load_b128 v[40:43], v[0:1], off
	global_load_b128 v[44:47], v[2:3], off
	global_load_b128 v[48:51], v[32:33], off
	global_load_b128 v[52:55], v[34:35], off
	global_load_b128 v[56:59], v[36:37], off
	s_mov_b32 s12, 0x134454ff
	s_mov_b32 s13, 0x3fee6f0e
	v_add_nc_u32_e32 v39, s4, v39
	v_add_co_u32 v0, vcc_lo, v38, s2
	s_wait_alu 0xfffd
	s_delay_alu instid0(VALU_DEP_2) | instskip(NEXT) | instid1(VALU_DEP_2)
	v_add_co_ci_u32_e32 v1, vcc_lo, s3, v39, vcc_lo
	v_add_co_u32 v2, vcc_lo, v0, s2
	global_load_b128 v[60:63], v[38:39], off
	s_wait_alu 0xfffd
	v_add_co_ci_u32_e32 v3, vcc_lo, s3, v1, vcc_lo
	v_add_co_u32 v36, vcc_lo, v2, s2
	global_load_b128 v[64:67], v[0:1], off
	s_wait_alu 0xfffd
	v_add_co_ci_u32_e32 v37, vcc_lo, s3, v3, vcc_lo
	v_add_co_u32 v0, vcc_lo, v36, s2
	s_wait_alu 0xfffe
	s_mov_b32 s2, s12
	s_wait_alu 0xfffd
	v_add_co_ci_u32_e32 v1, vcc_lo, s3, v37, vcc_lo
	global_load_b128 v[68:71], v[2:3], off
	global_load_b128 v[32:35], v204, s[8:9] offset:15120
	global_load_b128 v[72:75], v[36:37], off
	global_load_b128 v[36:39], v204, s[8:9] offset:19440
	global_load_b128 v[77:80], v[0:1], off
	s_load_b128 s[4:7], s[6:7], 0x0
	s_mov_b32 s3, 0xbfee6f0e
	v_cmp_gt_u16_e32 vcc_lo, 45, v76
	s_wait_loadcnt 0x13
	scratch_store_b128 off, v[4:7], off offset:8 ; 16-byte Folded Spill
	s_wait_loadcnt 0x12
	scratch_store_b128 off, v[8:11], off offset:24 ; 16-byte Folded Spill
	;; [unrolled: 2-line block ×6, first 2 shown]
	s_wait_loadcnt 0xb
	v_mul_f64_e32 v[0:1], v[42:43], v[14:15]
	v_mul_f64_e32 v[2:3], v[40:41], v[14:15]
	s_wait_loadcnt 0xa
	v_mul_f64_e32 v[81:82], v[46:47], v[22:23]
	v_mul_f64_e32 v[83:84], v[44:45], v[22:23]
	;; [unrolled: 3-line block ×10, first 2 shown]
	v_fma_f64 v[40:41], v[40:41], v[12:13], v[0:1]
	v_fma_f64 v[42:43], v[42:43], v[12:13], -v[2:3]
	v_fma_f64 v[44:45], v[44:45], v[20:21], v[81:82]
	v_fma_f64 v[46:47], v[46:47], v[20:21], -v[83:84]
	v_fma_f64 v[48:49], v[48:49], v[24:25], v[85:86]
	v_fma_f64 v[50:51], v[50:51], v[24:25], -v[87:88]
	v_fma_f64 v[52:53], v[52:53], v[4:5], v[89:90]
	v_fma_f64 v[54:55], v[54:55], v[4:5], -v[91:92]
	v_fma_f64 v[56:57], v[56:57], v[8:9], v[93:94]
	v_fma_f64 v[58:59], v[58:59], v[8:9], -v[95:96]
	v_and_b32_e32 v4, 0xff, v76
	s_delay_alu instid0(VALU_DEP_1)
	v_mul_lo_u16 v4, 0xcd, v4
	v_fma_f64 v[60:61], v[60:61], v[16:17], v[97:98]
	v_fma_f64 v[62:63], v[62:63], v[16:17], -v[99:100]
	v_fma_f64 v[64:65], v[64:65], v[117:118], v[101:102]
	v_fma_f64 v[66:67], v[66:67], v[117:118], -v[103:104]
	;; [unrolled: 2-line block ×5, first 2 shown]
	ds_store_b128 v204, v[40:43]
	ds_store_b128 v204, v[60:63] offset:2160
	ds_store_b128 v204, v[44:47] offset:4320
	;; [unrolled: 1-line block ×9, first 2 shown]
	global_wb scope:SCOPE_SE
	s_wait_storecnt_dscnt 0x0
	s_wait_kmcnt 0x0
	s_barrier_signal -1
	s_barrier_wait -1
	global_inv scope:SCOPE_SE
	ds_load_b128 v[40:43], v204 offset:12960
	ds_load_b128 v[44:47], v204 offset:8640
	;; [unrolled: 1-line block ×8, first 2 shown]
	ds_load_b128 v[72:75], v204
	ds_load_b128 v[77:80], v204 offset:2160
	global_wb scope:SCOPE_SE
	s_wait_dscnt 0x0
	s_barrier_signal -1
	s_barrier_wait -1
	global_inv scope:SCOPE_SE
	v_add_f64_e32 v[0:1], v[44:45], v[40:41]
	v_add_f64_e32 v[81:82], v[46:47], v[42:43]
	;; [unrolled: 1-line block ×10, first 2 shown]
	v_add_f64_e64 v[95:96], v[50:51], -v[54:55]
	v_add_f64_e64 v[97:98], v[46:47], -v[42:43]
	v_add_f64_e32 v[101:102], v[77:78], v[64:65]
	v_add_f64_e32 v[103:104], v[79:80], v[66:67]
	v_add_f64_e64 v[105:106], v[48:49], -v[52:53]
	v_add_f64_e64 v[107:108], v[66:67], -v[70:71]
	;; [unrolled: 1-line block ×17, first 2 shown]
	v_fma_f64 v[0:1], v[0:1], -0.5, v[72:73]
	v_fma_f64 v[81:82], v[81:82], -0.5, v[74:75]
	;; [unrolled: 1-line block ×3, first 2 shown]
	v_add_f64_e64 v[72:73], v[44:45], -v[40:41]
	v_fma_f64 v[74:75], v[83:84], -0.5, v[74:75]
	v_fma_f64 v[85:86], v[85:86], -0.5, v[77:78]
	;; [unrolled: 1-line block ×3, first 2 shown]
	v_add_f64_e64 v[83:84], v[58:59], -v[62:63]
	v_fma_f64 v[77:78], v[87:88], -0.5, v[77:78]
	v_add_f64_e64 v[87:88], v[56:57], -v[60:61]
	v_fma_f64 v[79:80], v[91:92], -0.5, v[79:80]
	v_add_f64_e64 v[91:92], v[48:49], -v[44:45]
	v_add_f64_e64 v[48:49], v[44:45], -v[48:49]
	v_add_f64_e32 v[44:45], v[93:94], v[44:45]
	v_add_f64_e32 v[46:47], v[99:100], v[46:47]
	;; [unrolled: 1-line block ×4, first 2 shown]
	v_fma_f64 v[93:94], v[95:96], s[12:13], v[0:1]
	s_wait_alu 0xfffe
	v_fma_f64 v[101:102], v[105:106], s[2:3], v[81:82]
	v_fma_f64 v[99:100], v[97:98], s[2:3], v[2:3]
	;; [unrolled: 1-line block ×15, first 2 shown]
	v_add_f64_e32 v[40:41], v[44:45], v[40:41]
	v_add_f64_e32 v[42:43], v[46:47], v[42:43]
	;; [unrolled: 1-line block ×12, first 2 shown]
	v_fma_f64 v[48:49], v[97:98], s[16:17], v[93:94]
	v_fma_f64 v[58:59], v[72:73], s[14:15], v[101:102]
	;; [unrolled: 1-line block ×16, first 2 shown]
	v_add_f64_e32 v[40:41], v[40:41], v[52:53]
	v_add_f64_e32 v[42:43], v[42:43], v[54:55]
	;; [unrolled: 1-line block ×4, first 2 shown]
	v_fma_f64 v[48:49], v[91:92], s[18:19], v[48:49]
	v_fma_f64 v[56:57], v[111:112], s[18:19], v[50:51]
	v_fma_f64 v[50:51], v[113:114], s[18:19], v[58:59]
	v_fma_f64 v[58:59], v[115:116], s[18:19], v[64:65]
	v_fma_f64 v[60:61], v[111:112], s[18:19], v[2:3]
	v_fma_f64 v[54:55], v[113:114], s[18:19], v[62:63]
	v_fma_f64 v[62:63], v[115:116], s[18:19], v[66:67]
	v_fma_f64 v[52:53], v[91:92], s[18:19], v[0:1]
	v_fma_f64 v[64:65], v[117:118], s[18:19], v[72:73]
	v_fma_f64 v[66:67], v[121:122], s[18:19], v[83:84]
	v_fma_f64 v[68:69], v[117:118], s[18:19], v[74:75]
	v_fma_f64 v[72:73], v[119:120], s[18:19], v[81:82]
	v_fma_f64 v[74:75], v[123:124], s[18:19], v[85:86]
	v_fma_f64 v[79:80], v[119:120], s[18:19], v[77:78]
	v_fma_f64 v[81:82], v[123:124], s[18:19], v[93:94]
	v_fma_f64 v[70:71], v[121:122], s[18:19], v[87:88]
	v_lshrrev_b16 v77, 10, v4
	v_mul_lo_u16 v1, v76, 5
	v_mul_u32_u24_e32 v2, 5, v201
	s_delay_alu instid0(VALU_DEP_3) | instskip(NEXT) | instid1(VALU_DEP_3)
	v_mul_lo_u16 v0, v77, 5
	v_and_b32_e32 v1, 0xffff, v1
	s_delay_alu instid0(VALU_DEP_3) | instskip(NEXT) | instid1(VALU_DEP_3)
	v_lshlrev_b32_e32 v207, 4, v2
	v_sub_nc_u16 v0, v76, v0
	s_delay_alu instid0(VALU_DEP_3)
	v_lshlrev_b32_e32 v211, 4, v1
	ds_store_b128 v211, v[40:43]
	ds_store_b128 v211, v[48:51] offset:16
	ds_store_b128 v211, v[56:59] offset:32
	ds_store_b128 v211, v[60:63] offset:48
	ds_store_b128 v211, v[52:55] offset:64
	ds_store_b128 v207, v[44:47]
	ds_store_b128 v207, v[64:67] offset:16
	ds_store_b128 v207, v[72:75] offset:32
	;; [unrolled: 1-line block ×4, first 2 shown]
	v_and_b32_e32 v78, 0xff, v0
	global_wb scope:SCOPE_SE
	s_wait_dscnt 0x0
	s_barrier_signal -1
	s_barrier_wait -1
	global_inv scope:SCOPE_SE
	v_mad_co_u64_u32 v[0:1], null, 0x90, v78, s[10:11]
	s_clause 0x8
	global_load_b128 v[72:75], v[0:1], off offset:32
	global_load_b128 v[48:51], v[0:1], off offset:64
	global_load_b128 v[44:47], v[0:1], off offset:96
	global_load_b128 v[68:71], v[0:1], off offset:128
	global_load_b128 v[40:43], v[0:1], off
	global_load_b128 v[64:67], v[0:1], off offset:16
	global_load_b128 v[60:63], v[0:1], off offset:48
	;; [unrolled: 1-line block ×4, first 2 shown]
	ds_load_b128 v[79:82], v204 offset:6480
	ds_load_b128 v[83:86], v204 offset:10800
	;; [unrolled: 1-line block ×6, first 2 shown]
	s_wait_loadcnt_dscnt 0x805
	v_mul_f64_e32 v[2:3], v[79:80], v[74:75]
	s_wait_loadcnt_dscnt 0x704
	v_mul_f64_e32 v[103:104], v[85:86], v[50:51]
	v_mul_f64_e32 v[105:106], v[83:84], v[50:51]
	s_wait_loadcnt_dscnt 0x603
	v_mul_f64_e32 v[107:108], v[87:88], v[46:47]
	s_wait_loadcnt_dscnt 0x502
	v_mul_f64_e32 v[109:110], v[91:92], v[70:71]
	v_mul_f64_e32 v[113:114], v[89:90], v[46:47]
	;; [unrolled: 1-line block ×4, first 2 shown]
	s_wait_loadcnt_dscnt 0x401
	v_mul_f64_e32 v[115:116], v[97:98], v[42:43]
	v_mul_f64_e32 v[117:118], v[95:96], v[42:43]
	v_fma_f64 v[2:3], v[81:82], v[72:73], v[2:3]
	v_fma_f64 v[103:104], v[83:84], v[48:49], -v[103:104]
	v_fma_f64 v[105:106], v[85:86], v[48:49], v[105:106]
	v_fma_f64 v[107:108], v[89:90], v[44:45], v[107:108]
	;; [unrolled: 1-line block ×3, first 2 shown]
	v_fma_f64 v[109:110], v[87:88], v[44:45], -v[113:114]
	v_fma_f64 v[0:1], v[79:80], v[72:73], -v[0:1]
	;; [unrolled: 1-line block ×3, first 2 shown]
	ds_load_b128 v[79:82], v204 offset:8640
	ds_load_b128 v[83:86], v204 offset:12960
	;; [unrolled: 1-line block ×3, first 2 shown]
	s_wait_loadcnt_dscnt 0x303
	v_mul_f64_e32 v[111:112], v[101:102], v[66:67]
	v_mul_f64_e32 v[113:114], v[99:100], v[66:67]
	v_fma_f64 v[95:96], v[95:96], v[40:41], -v[115:116]
	v_fma_f64 v[97:98], v[97:98], v[40:41], v[117:118]
	s_wait_loadcnt_dscnt 0x202
	v_mul_f64_e32 v[119:120], v[81:82], v[62:63]
	v_mul_f64_e32 v[121:122], v[79:80], v[62:63]
	s_wait_loadcnt_dscnt 0x101
	v_mul_f64_e32 v[123:124], v[85:86], v[58:59]
	s_wait_loadcnt_dscnt 0x0
	v_mul_f64_e32 v[125:126], v[89:90], v[54:55]
	v_mul_f64_e32 v[127:128], v[83:84], v[58:59]
	;; [unrolled: 1-line block ×3, first 2 shown]
	v_add_f64_e64 v[147:148], v[2:3], -v[105:106]
	v_add_f64_e32 v[115:116], v[105:106], v[107:108]
	v_add_f64_e32 v[117:118], v[2:3], v[93:94]
	;; [unrolled: 1-line block ×3, first 2 shown]
	v_add_f64_e64 v[139:140], v[0:1], -v[103:104]
	v_add_f64_e32 v[131:132], v[0:1], v[91:92]
	v_add_f64_e64 v[141:142], v[91:92], -v[109:110]
	v_fma_f64 v[99:100], v[99:100], v[64:65], -v[111:112]
	v_fma_f64 v[101:102], v[101:102], v[64:65], v[113:114]
	v_add_f64_e64 v[143:144], v[103:104], -v[0:1]
	v_add_f64_e64 v[145:146], v[109:110], -v[91:92]
	;; [unrolled: 1-line block ×5, first 2 shown]
	v_fma_f64 v[111:112], v[79:80], v[60:61], -v[119:120]
	v_fma_f64 v[113:114], v[81:82], v[60:61], v[121:122]
	v_fma_f64 v[83:84], v[83:84], v[56:57], -v[123:124]
	v_fma_f64 v[87:88], v[87:88], v[52:53], -v[125:126]
	v_fma_f64 v[85:86], v[85:86], v[56:57], v[127:128]
	v_fma_f64 v[89:90], v[89:90], v[52:53], v[129:130]
	v_add_f64_e64 v[119:120], v[2:3], -v[93:94]
	v_add_f64_e64 v[123:124], v[0:1], -v[91:92]
	;; [unrolled: 1-line block ×4, first 2 shown]
	ds_load_b128 v[79:82], v204
	v_add_f64_e32 v[0:1], v[95:96], v[0:1]
	v_add_f64_e32 v[2:3], v[97:98], v[2:3]
	global_wb scope:SCOPE_SE
	s_wait_dscnt 0x0
	s_barrier_signal -1
	v_fma_f64 v[115:116], v[115:116], -0.5, v[97:98]
	v_fma_f64 v[117:118], v[117:118], -0.5, v[97:98]
	;; [unrolled: 1-line block ×3, first 2 shown]
	s_barrier_wait -1
	v_fma_f64 v[127:128], v[131:132], -0.5, v[95:96]
	global_inv scope:SCOPE_SE
	v_add_f64_e32 v[163:164], v[79:80], v[99:100]
	v_add_f64_e32 v[169:170], v[81:82], v[101:102]
	;; [unrolled: 1-line block ×6, first 2 shown]
	v_add_f64_e64 v[165:166], v[101:102], -v[89:90]
	v_add_f64_e64 v[171:172], v[99:100], -v[87:88]
	;; [unrolled: 1-line block ×4, first 2 shown]
	v_add_f64_e32 v[0:1], v[0:1], v[103:104]
	v_add_f64_e32 v[2:3], v[2:3], v[105:106]
	v_fma_f64 v[155:156], v[123:124], s[2:3], v[115:116]
	v_fma_f64 v[157:158], v[125:126], s[12:13], v[117:118]
	;; [unrolled: 1-line block ×8, first 2 shown]
	v_fma_f64 v[95:96], v[131:132], -0.5, v[79:80]
	v_fma_f64 v[79:80], v[133:134], -0.5, v[79:80]
	;; [unrolled: 1-line block ×4, first 2 shown]
	v_add_f64_e32 v[131:132], v[139:140], v[141:142]
	v_add_f64_e32 v[133:134], v[143:144], v[145:146]
	;; [unrolled: 1-line block ×4, first 2 shown]
	v_add_f64_e64 v[147:148], v[89:90], -v[85:86]
	v_add_f64_e64 v[149:150], v[85:86], -v[89:90]
	v_add_f64_e32 v[0:1], v[0:1], v[109:110]
	v_add_f64_e32 v[2:3], v[2:3], v[107:108]
	v_fma_f64 v[139:140], v[125:126], s[14:15], v[155:156]
	v_fma_f64 v[141:142], v[123:124], s[14:15], v[157:158]
	;; [unrolled: 1-line block ×8, first 2 shown]
	v_add_f64_e64 v[123:124], v[99:100], -v[111:112]
	v_add_f64_e64 v[99:100], v[111:112], -v[99:100]
	v_add_f64_e64 v[129:130], v[101:102], -v[113:114]
	v_add_f64_e64 v[101:102], v[113:114], -v[101:102]
	v_add_f64_e32 v[111:112], v[163:164], v[111:112]
	v_add_f64_e32 v[113:114], v[169:170], v[113:114]
	v_add_f64_e64 v[125:126], v[87:88], -v[83:84]
	v_add_f64_e64 v[127:128], v[83:84], -v[87:88]
	v_fma_f64 v[103:104], v[165:166], s[12:13], v[95:96]
	v_fma_f64 v[105:106], v[167:168], s[2:3], v[79:80]
	;; [unrolled: 1-line block ×8, first 2 shown]
	v_add_f64_e32 v[0:1], v[0:1], v[91:92]
	v_add_f64_e32 v[2:3], v[2:3], v[93:94]
	v_fma_f64 v[139:140], v[135:136], s[18:19], v[139:140]
	v_fma_f64 v[141:142], v[137:138], s[18:19], v[141:142]
	;; [unrolled: 1-line block ×8, first 2 shown]
	v_add_f64_e32 v[101:102], v[101:102], v[149:150]
	v_add_f64_e32 v[83:84], v[111:112], v[83:84]
	;; [unrolled: 1-line block ×6, first 2 shown]
	v_fma_f64 v[103:104], v[167:168], s[16:17], v[103:104]
	v_fma_f64 v[105:106], v[165:166], s[16:17], v[105:106]
	;; [unrolled: 1-line block ×8, first 2 shown]
	v_mul_f64_e32 v[111:112], s[16:17], v[139:140]
	v_mul_f64_e32 v[113:114], s[12:13], v[141:142]
	;; [unrolled: 1-line block ×8, first 2 shown]
	v_add_f64_e32 v[83:84], v[83:84], v[87:88]
	v_add_f64_e32 v[85:86], v[85:86], v[89:90]
	v_fma_f64 v[103:104], v[123:124], s[18:19], v[103:104]
	v_fma_f64 v[105:106], v[99:100], s[18:19], v[105:106]
	;; [unrolled: 1-line block ×10, first 2 shown]
	v_fma_f64 v[114:115], v[115:116], s[16:17], -v[129:130]
	v_fma_f64 v[119:120], v[139:140], s[20:21], v[131:132]
	v_fma_f64 v[117:118], v[117:118], s[12:13], -v[127:128]
	v_fma_f64 v[121:122], v[141:142], s[18:19], v[133:134]
	v_fma_f64 v[127:128], v[143:144], s[2:3], -v[135:136]
	v_fma_f64 v[129:130], v[145:146], s[14:15], -v[137:138]
	s_load_b64 s[2:3], s[0:1], 0x38
	v_add_f64_e32 v[79:80], v[83:84], v[0:1]
	v_add_f64_e32 v[81:82], v[85:86], v[2:3]
	v_add_f64_e64 v[83:84], v[83:84], -v[0:1]
	v_add_f64_e64 v[85:86], v[85:86], -v[2:3]
	v_and_b32_e32 v0, 0xffff, v77
	s_delay_alu instid0(VALU_DEP_1) | instskip(NEXT) | instid1(VALU_DEP_1)
	v_mul_u32_u24_e32 v0, 50, v0
	v_add_lshl_u32 v205, v0, v78, 4
	v_add_f64_e32 v[87:88], v[103:104], v[107:108]
	v_add_f64_e32 v[91:92], v[105:106], v[109:110]
	;; [unrolled: 1-line block ×8, first 2 shown]
	v_add_f64_e64 v[103:104], v[103:104], -v[107:108]
	v_add_f64_e64 v[112:113], v[105:106], -v[109:110]
	;; [unrolled: 1-line block ×8, first 2 shown]
	ds_store_b128 v205, v[79:82]
	ds_store_b128 v205, v[87:90] offset:80
	ds_store_b128 v205, v[91:94] offset:160
	;; [unrolled: 1-line block ×9, first 2 shown]
	global_wb scope:SCOPE_SE
	s_wait_dscnt 0x0
	s_wait_kmcnt 0x0
	s_barrier_signal -1
	s_barrier_wait -1
	global_inv scope:SCOPE_SE
	ds_load_b128 v[116:119], v204
	ds_load_b128 v[112:115], v204 offset:2160
	ds_load_b128 v[136:139], v204 offset:14400
	;; [unrolled: 1-line block ×8, first 2 shown]
                                        ; implicit-def: $vgpr148_vgpr149
                                        ; implicit-def: $vgpr152_vgpr153
	s_and_saveexec_b32 s0, vcc_lo
	s_cbranch_execz .LBB0_3
; %bb.2:
	ds_load_b128 v[108:111], v204 offset:6480
	ds_load_b128 v[148:151], v204 offset:13680
	;; [unrolled: 1-line block ×3, first 2 shown]
.LBB0_3:
	s_wait_alu 0xfffe
	s_or_b32 exec_lo, exec_lo, s0
	v_lshrrev_b16 v0, 1, v201
	v_add_co_u32 v197, s0, 0x10e, v203
	s_wait_alu 0xf1ff
	v_add_co_ci_u32_e64 v198, null, 0, 0, s0
	v_and_b32_e32 v1, 0xff, v203
	v_and_b32_e32 v0, 0xffff, v0
	v_add_co_u32 v202, s0, 0x195, v203
	v_lshrrev_b16 v2, 1, v197
	s_delay_alu instid0(VALU_DEP_4) | instskip(NEXT) | instid1(VALU_DEP_4)
	v_mul_lo_u16 v1, v1, 41
	v_mul_u32_u24_e32 v0, 0x147b, v0
	s_delay_alu instid0(VALU_DEP_4)
	v_lshrrev_b16 v3, 1, v202
	s_wait_alu 0xf1ff
	v_add_co_ci_u32_e64 v215, null, 0, 0, s0
	v_and_b32_e32 v190, 0xffff, v2
	v_lshrrev_b32_e32 v4, 17, v0
	v_lshrrev_b16 v5, 11, v1
	v_and_b32_e32 v189, 0xffff, v3
	s_mov_b32 s13, 0xbfebb67a
	v_mul_u32_u24_e32 v0, 0x147b, v190
	v_mul_lo_u16 v1, v4, 50
	v_mul_lo_u16 v2, v5, 50
	v_mul_u32_u24_e32 v3, 0x147b, v189
	s_delay_alu instid0(VALU_DEP_4) | instskip(NEXT) | instid1(VALU_DEP_4)
	v_lshrrev_b32_e32 v6, 17, v0
	v_sub_nc_u16 v7, v201, v1
	s_delay_alu instid0(VALU_DEP_4) | instskip(NEXT) | instid1(VALU_DEP_4)
	v_sub_nc_u16 v0, v203, v2
	v_lshrrev_b32_e32 v1, 17, v3
	s_delay_alu instid0(VALU_DEP_4) | instskip(NEXT) | instid1(VALU_DEP_4)
	v_mul_lo_u16 v2, v6, 50
	v_lshlrev_b16 v3, 5, v7
	s_delay_alu instid0(VALU_DEP_4) | instskip(NEXT) | instid1(VALU_DEP_4)
	v_and_b32_e32 v8, 0xff, v0
	v_mul_lo_u16 v0, v1, 50
	s_delay_alu instid0(VALU_DEP_4) | instskip(NEXT) | instid1(VALU_DEP_4)
	v_sub_nc_u16 v9, v197, v2
	v_and_b32_e32 v1, 0xffff, v3
	s_delay_alu instid0(VALU_DEP_4) | instskip(NEXT) | instid1(VALU_DEP_4)
	v_lshlrev_b32_e32 v2, 5, v8
	v_sub_nc_u16 v10, v202, v0
	s_clause 0x1
	global_load_b128 v[80:83], v2, s[10:11] offset:736
	global_load_b128 v[88:91], v2, s[10:11] offset:720
	v_lshlrev_b16 v3, 5, v9
	v_lshlrev_b16 v11, 5, v10
	v_add_co_u32 v0, s0, s10, v1
	s_wait_alu 0xf1ff
	v_add_co_ci_u32_e64 v1, null, s11, 0, s0
	v_and_b32_e32 v2, 0xffff, v3
	v_and_b32_e32 v3, 0xffff, v11
	s_clause 0x1
	global_load_b128 v[76:79], v[0:1], off offset:736
	global_load_b128 v[84:87], v[0:1], off offset:720
	v_add_co_u32 v0, s0, s10, v2
	s_wait_alu 0xf1ff
	v_add_co_ci_u32_e64 v1, null, s11, 0, s0
	v_add_co_u32 v2, s0, s10, v3
	s_wait_alu 0xf1ff
	v_add_co_ci_u32_e64 v3, null, s11, 0, s0
	s_clause 0x3
	global_load_b128 v[96:99], v[0:1], off offset:720
	global_load_b128 v[92:95], v[0:1], off offset:736
	;; [unrolled: 1-line block ×4, first 2 shown]
	s_mov_b32 s0, 0xe8584caa
	s_mov_b32 s1, 0x3febb67a
	s_wait_alu 0xfffe
	s_mov_b32 s12, s0
	s_wait_loadcnt_dscnt 0x706
	v_mul_f64_e32 v[2:3], v[138:139], v[82:83]
	s_wait_loadcnt_dscnt 0x604
	v_mul_f64_e32 v[0:1], v[146:147], v[90:91]
	v_mul_f64_e32 v[156:157], v[144:145], v[90:91]
	;; [unrolled: 1-line block ×3, first 2 shown]
	s_wait_loadcnt 0x5
	v_mul_f64_e32 v[162:163], v[126:127], v[78:79]
	s_wait_loadcnt_dscnt 0x402
	v_mul_f64_e32 v[160:161], v[142:143], v[86:87]
	v_mul_f64_e32 v[164:165], v[140:141], v[86:87]
	;; [unrolled: 1-line block ×3, first 2 shown]
	s_wait_loadcnt_dscnt 0x301
	v_mul_f64_e32 v[168:169], v[130:131], v[98:99]
	s_wait_loadcnt_dscnt 0x200
	v_mul_f64_e32 v[170:171], v[134:135], v[94:95]
	v_mul_f64_e32 v[172:173], v[128:129], v[98:99]
	;; [unrolled: 1-line block ×3, first 2 shown]
	s_wait_loadcnt 0x1
	v_mul_f64_e32 v[176:177], v[150:151], v[106:107]
	s_wait_loadcnt 0x0
	v_mul_f64_e32 v[178:179], v[154:155], v[102:103]
	v_mul_f64_e32 v[180:181], v[148:149], v[106:107]
	;; [unrolled: 1-line block ×3, first 2 shown]
	v_fma_f64 v[2:3], v[136:137], v[80:81], -v[2:3]
	v_fma_f64 v[0:1], v[144:145], v[88:89], -v[0:1]
	v_fma_f64 v[136:137], v[146:147], v[88:89], v[156:157]
	v_fma_f64 v[138:139], v[138:139], v[80:81], v[158:159]
	v_fma_f64 v[124:125], v[124:125], v[76:77], -v[162:163]
	v_fma_f64 v[140:141], v[140:141], v[84:85], -v[160:161]
	v_fma_f64 v[142:143], v[142:143], v[84:85], v[164:165]
	v_fma_f64 v[126:127], v[126:127], v[76:77], v[166:167]
	;; [unrolled: 4-line block ×4, first 2 shown]
	v_add_f64_e32 v[152:153], v[0:1], v[2:3]
	v_add_f64_e32 v[168:169], v[116:117], v[0:1]
	;; [unrolled: 1-line block ×3, first 2 shown]
	v_add_f64_e64 v[170:171], v[136:137], -v[138:139]
	v_add_f64_e32 v[136:137], v[118:119], v[136:137]
	v_add_f64_e64 v[0:1], v[0:1], -v[2:3]
	v_add_f64_e32 v[156:157], v[140:141], v[124:125]
	;; [unrolled: 2-line block ×4, first 2 shown]
	v_add_f64_e32 v[174:175], v[114:115], v[142:143]
	v_add_f64_e32 v[176:177], v[120:121], v[128:129]
	v_add_f64_e32 v[160:161], v[128:129], v[132:133]
	v_add_f64_e32 v[178:179], v[122:123], v[130:131]
	v_add_f64_e32 v[162:163], v[130:131], v[134:135]
	v_add_f64_e32 v[180:181], v[108:109], v[144:145]
	v_add_f64_e32 v[164:165], v[144:145], v[146:147]
	v_add_f64_e32 v[182:183], v[110:111], v[148:149]
	v_add_f64_e32 v[166:167], v[148:149], v[150:151]
	v_add_f64_e64 v[191:192], v[130:131], -v[134:135]
	v_add_f64_e64 v[193:194], v[128:129], -v[132:133]
	;; [unrolled: 1-line block ×4, first 2 shown]
	v_fma_f64 v[152:153], v[152:153], -0.5, v[116:117]
	v_fma_f64 v[154:155], v[154:155], -0.5, v[118:119]
	;; [unrolled: 1-line block ×4, first 2 shown]
	v_add_f64_e32 v[112:113], v[172:173], v[124:125]
	v_add_f64_e32 v[114:115], v[174:175], v[126:127]
	;; [unrolled: 1-line block ×3, first 2 shown]
	v_fma_f64 v[160:161], v[160:161], -0.5, v[120:121]
	v_add_f64_e32 v[118:119], v[178:179], v[134:135]
	v_fma_f64 v[162:163], v[162:163], -0.5, v[122:123]
	v_add_f64_e32 v[140:141], v[180:181], v[146:147]
	;; [unrolled: 2-line block ×4, first 2 shown]
	v_add_f64_e32 v[142:143], v[182:183], v[150:151]
	v_mad_u16 v2, 0x96, v6, v9
	s_delay_alu instid0(VALU_DEP_1)
	v_and_b32_e32 v2, 0xffff, v2
	v_fma_f64 v[120:121], v[170:171], s[0:1], v[152:153]
	s_wait_alu 0xfffe
	v_fma_f64 v[124:125], v[170:171], s[12:13], v[152:153]
	v_fma_f64 v[122:123], v[0:1], s[12:13], v[154:155]
	;; [unrolled: 1-line block ×3, first 2 shown]
	v_and_b32_e32 v0, 0xffff, v5
	v_mad_u16 v1, 0x96, v4, v7
	v_lshlrev_b32_e32 v255, 4, v2
	s_delay_alu instid0(VALU_DEP_3)
	v_mul_u32_u24_e32 v0, 0x96, v0
	v_fma_f64 v[128:129], v[184:185], s[0:1], v[156:157]
	v_fma_f64 v[132:133], v[184:185], s[12:13], v[156:157]
	;; [unrolled: 1-line block ×4, first 2 shown]
	v_and_b32_e32 v1, 0xffff, v1
	v_add_lshl_u32 v206, v0, v8, 4
	v_and_b32_e32 v0, 0xffff, v10
	v_fma_f64 v[136:137], v[191:192], s[0:1], v[160:161]
	v_fma_f64 v[144:145], v[191:192], s[12:13], v[160:161]
	;; [unrolled: 1-line block ×8, first 2 shown]
	v_lshlrev_b32_e32 v210, 4, v1
	scratch_store_b32 off, v0, off offset:104 ; 4-byte Folded Spill
	global_wb scope:SCOPE_SE
	s_wait_storecnt 0x0
	s_barrier_signal -1
	s_barrier_wait -1
	global_inv scope:SCOPE_SE
	ds_store_b128 v206, v[108:111]
	ds_store_b128 v206, v[120:123] offset:800
	ds_store_b128 v206, v[124:127] offset:1600
	ds_store_b128 v210, v[112:115]
	ds_store_b128 v210, v[128:131] offset:800
	ds_store_b128 v210, v[132:135] offset:1600
	;; [unrolled: 3-line block ×3, first 2 shown]
	s_and_saveexec_b32 s0, vcc_lo
	s_cbranch_execz .LBB0_5
; %bb.4:
	scratch_load_b32 v0, off, off offset:104 ; 4-byte Folded Reload
	s_wait_loadcnt 0x0
	v_lshlrev_b32_e32 v0, 4, v0
	ds_store_b128 v0, v[140:143] offset:19200
	ds_store_b128 v0, v[156:159] offset:20000
	;; [unrolled: 1-line block ×3, first 2 shown]
.LBB0_5:
	s_wait_alu 0xfffe
	s_or_b32 exec_lo, exec_lo, s0
	global_wb scope:SCOPE_SE
	s_wait_dscnt 0x0
	s_barrier_signal -1
	s_barrier_wait -1
	global_inv scope:SCOPE_SE
	ds_load_b128 v[148:151], v204
	ds_load_b128 v[144:147], v204 offset:2160
	ds_load_b128 v[176:179], v204 offset:14400
	;; [unrolled: 1-line block ×8, first 2 shown]
	s_and_saveexec_b32 s0, vcc_lo
	s_cbranch_execz .LBB0_7
; %bb.6:
	ds_load_b128 v[140:143], v204 offset:6480
	ds_load_b128 v[156:159], v204 offset:13680
	;; [unrolled: 1-line block ×3, first 2 shown]
.LBB0_7:
	s_wait_alu 0xfffe
	s_or_b32 exec_lo, exec_lo, s0
	v_mul_u32_u24_e32 v0, 0xda75, v190
	v_mul_u32_u24_e32 v3, 0xda75, v189
	v_add_co_u32 v2, s0, v203, -15
	s_wait_alu 0xf1ff
	v_add_co_ci_u32_e64 v1, null, 0, -1, s0
	v_lshrrev_b32_e32 v4, 22, v0
	v_cmp_gt_u16_e64 s0, 15, v203
	v_lshrrev_b32_e32 v3, 22, v3
	v_lshlrev_b32_e32 v6, 5, v203
	s_clause 0x1
	global_load_b128 v[112:115], v6, s[10:11] offset:2336
	global_load_b128 v[120:123], v6, s[10:11] offset:2320
	v_mul_lo_u16 v5, 0x96, v4
	s_wait_alu 0xf1ff
	v_cndmask_b32_e64 v1, v1, v188, s0
	v_cndmask_b32_e64 v0, v2, v201, s0
	v_mul_lo_u16 v3, 0x96, v3
	v_sub_nc_u16 v5, v197, v5
	s_delay_alu instid0(VALU_DEP_3) | instskip(NEXT) | instid1(VALU_DEP_3)
	v_lshlrev_b64_e32 v[1:2], 5, v[0:1]
	v_sub_nc_u16 v3, v202, v3
	s_delay_alu instid0(VALU_DEP_3) | instskip(NEXT) | instid1(VALU_DEP_2)
	v_lshlrev_b16 v7, 5, v5
	v_lshlrev_b16 v8, 5, v3
	s_delay_alu instid0(VALU_DEP_4)
	v_add_co_u32 v1, s0, s10, v1
	s_wait_alu 0xf1ff
	v_add_co_ci_u32_e64 v2, s0, s11, v2, s0
	v_and_b32_e32 v7, 0xffff, v7
	v_and_b32_e32 v8, 0xffff, v8
	s_clause 0x1
	global_load_b128 v[108:111], v[1:2], off offset:2336
	global_load_b128 v[116:119], v[1:2], off offset:2320
	v_add_co_u32 v1, s0, s10, v7
	s_wait_alu 0xf1ff
	v_add_co_ci_u32_e64 v2, null, s11, 0, s0
	v_add_co_u32 v132, s0, s10, v8
	s_wait_alu 0xf1ff
	v_add_co_ci_u32_e64 v133, null, s11, 0, s0
	s_clause 0x3
	global_load_b128 v[128:131], v[1:2], off offset:2320
	global_load_b128 v[124:127], v[1:2], off offset:2336
	;; [unrolled: 1-line block ×4, first 2 shown]
	s_mov_b32 s0, 0xe8584caa
	s_mov_b32 s1, 0x3febb67a
	s_wait_alu 0xfffe
	s_mov_b32 s12, s0
	s_wait_loadcnt_dscnt 0x706
	v_mul_f64_e32 v[188:189], v[178:179], v[114:115]
	s_wait_loadcnt_dscnt 0x604
	v_mul_f64_e32 v[1:2], v[186:187], v[122:123]
	v_mul_f64_e32 v[190:191], v[184:185], v[122:123]
	;; [unrolled: 1-line block ×3, first 2 shown]
	s_wait_loadcnt 0x5
	v_mul_f64_e32 v[216:217], v[164:165], v[110:111]
	s_wait_loadcnt_dscnt 0x402
	v_mul_f64_e32 v[212:213], v[180:181], v[118:119]
	v_mul_f64_e32 v[194:195], v[182:183], v[118:119]
	;; [unrolled: 1-line block ×3, first 2 shown]
	s_wait_loadcnt_dscnt 0x301
	v_mul_f64_e32 v[218:219], v[170:171], v[130:131]
	s_wait_loadcnt_dscnt 0x200
	v_mul_f64_e32 v[220:221], v[174:175], v[126:127]
	v_mul_f64_e32 v[222:223], v[168:169], v[130:131]
	;; [unrolled: 1-line block ×3, first 2 shown]
	s_wait_loadcnt 0x1
	v_mul_f64_e32 v[226:227], v[158:159], v[138:139]
	s_wait_loadcnt 0x0
	v_mul_f64_e32 v[228:229], v[162:163], v[134:135]
	v_mul_f64_e32 v[230:231], v[156:157], v[138:139]
	;; [unrolled: 1-line block ×3, first 2 shown]
	v_fma_f64 v[1:2], v[184:185], v[120:121], -v[1:2]
	v_fma_f64 v[176:177], v[176:177], v[112:113], -v[188:189]
	v_fma_f64 v[184:185], v[186:187], v[120:121], v[190:191]
	v_fma_f64 v[178:179], v[178:179], v[112:113], v[192:193]
	;; [unrolled: 1-line block ×4, first 2 shown]
	v_fma_f64 v[180:181], v[180:181], v[116:117], -v[194:195]
	v_fma_f64 v[164:165], v[164:165], v[108:109], -v[199:200]
	;; [unrolled: 1-line block ×4, first 2 shown]
	v_fma_f64 v[170:171], v[170:171], v[128:129], v[222:223]
	v_fma_f64 v[174:175], v[174:175], v[124:125], v[224:225]
	v_fma_f64 v[156:157], v[156:157], v[136:137], -v[226:227]
	v_fma_f64 v[160:161], v[160:161], v[132:133], -v[228:229]
	v_fma_f64 v[158:159], v[158:159], v[136:137], v[230:231]
	v_fma_f64 v[162:163], v[162:163], v[132:133], v[232:233]
	v_add_f64_e32 v[218:219], v[148:149], v[1:2]
	v_add_f64_e32 v[186:187], v[1:2], v[176:177]
	v_add_f64_e64 v[1:2], v[1:2], -v[176:177]
	v_add_f64_e32 v[188:189], v[184:185], v[178:179]
	v_add_f64_e64 v[220:221], v[184:185], -v[178:179]
	v_add_f64_e32 v[184:185], v[150:151], v[184:185]
	v_add_f64_e32 v[192:193], v[182:183], v[166:167]
	;; [unrolled: 1-line block ×4, first 2 shown]
	v_add_f64_e64 v[236:237], v[180:181], -v[164:165]
	v_add_f64_e32 v[224:225], v[146:147], v[182:183]
	v_add_f64_e64 v[234:235], v[182:183], -v[166:167]
	v_add_f64_e32 v[226:227], v[152:153], v[168:169]
	v_add_f64_e32 v[194:195], v[168:169], v[172:173]
	;; [unrolled: 1-line block ×8, first 2 shown]
	v_add_f64_e64 v[240:241], v[158:159], -v[162:163]
	v_fma_f64 v[186:187], v[186:187], -0.5, v[148:149]
	v_add_f64_e64 v[242:243], v[156:157], -v[160:161]
	v_fma_f64 v[188:189], v[188:189], -0.5, v[150:151]
	;; [unrolled: 2-line block ×3, first 2 shown]
	v_fma_f64 v[190:191], v[190:191], -0.5, v[144:145]
	v_add_f64_e32 v[144:145], v[222:223], v[164:165]
	v_add_f64_e32 v[146:147], v[224:225], v[166:167]
	;; [unrolled: 1-line block ×3, first 2 shown]
	v_fma_f64 v[152:153], v[194:195], -0.5, v[152:153]
	v_add_f64_e64 v[194:195], v[168:169], -v[172:173]
	v_fma_f64 v[199:200], v[199:200], -0.5, v[154:155]
	v_add_f64_e32 v[180:181], v[230:231], v[160:161]
	v_fma_f64 v[212:213], v[212:213], -0.5, v[140:141]
	v_add_f64_e32 v[140:141], v[218:219], v[176:177]
	;; [unrolled: 2-line block ×3, first 2 shown]
	v_add_f64_e32 v[182:183], v[232:233], v[162:163]
	v_fma_f64 v[154:155], v[220:221], s[0:1], v[186:187]
	s_wait_alu 0xfffe
	v_fma_f64 v[158:159], v[220:221], s[12:13], v[186:187]
	v_fma_f64 v[156:157], v[1:2], s[12:13], v[188:189]
	v_fma_f64 v[160:161], v[1:2], s[0:1], v[188:189]
	v_add_f64_e32 v[150:151], v[228:229], v[174:175]
	v_mad_u16 v1, 0x1c2, v4, v5
	s_delay_alu instid0(VALU_DEP_1) | instskip(NEXT) | instid1(VALU_DEP_1)
	v_and_b32_e32 v1, 0xffff, v1
	v_lshlrev_b32_e32 v214, 4, v1
	v_fma_f64 v[164:165], v[236:237], s[12:13], v[192:193]
	v_fma_f64 v[168:169], v[236:237], s[0:1], v[192:193]
	;; [unrolled: 1-line block ×12, first 2 shown]
	v_cmp_lt_u16_e64 s0, 14, v203
	s_wait_alu 0xf1ff
	s_delay_alu instid0(VALU_DEP_1) | instskip(SKIP_3) | instid1(VALU_DEP_3)
	v_cndmask_b32_e64 v2, 0, 0x1c2, s0
	v_add_co_u32 v152, s0, s10, v6
	s_wait_alu 0xf1ff
	v_add_co_ci_u32_e64 v153, null, s11, 0, s0
	v_add_lshl_u32 v196, v0, v2, 4
	v_and_b32_e32 v0, 0xffff, v3
	scratch_store_b32 off, v0, off offset:108 ; 4-byte Folded Spill
	global_wb scope:SCOPE_SE
	s_wait_storecnt 0x0
	s_barrier_signal -1
	s_barrier_wait -1
	global_inv scope:SCOPE_SE
	ds_store_b128 v204, v[140:143]
	ds_store_b128 v204, v[154:157] offset:2400
	ds_store_b128 v204, v[158:161] offset:4800
	ds_store_b128 v196, v[144:147]
	ds_store_b128 v196, v[162:165] offset:2400
	ds_store_b128 v196, v[166:169] offset:4800
	;; [unrolled: 3-line block ×3, first 2 shown]
	s_and_saveexec_b32 s0, vcc_lo
	s_cbranch_execz .LBB0_9
; %bb.8:
	scratch_load_b32 v0, off, off offset:108 ; 4-byte Folded Reload
	s_wait_loadcnt 0x0
	v_lshlrev_b32_e32 v0, 4, v0
	ds_store_b128 v0, v[180:183] offset:14400
	ds_store_b128 v0, v[184:187] offset:16800
	;; [unrolled: 1-line block ×3, first 2 shown]
.LBB0_9:
	s_wait_alu 0xfffe
	s_or_b32 exec_lo, exec_lo, s0
	global_wb scope:SCOPE_SE
	s_wait_dscnt 0x0
	s_barrier_signal -1
	s_barrier_wait -1
	global_inv scope:SCOPE_SE
	ds_load_b128 v[188:191], v204
	ds_load_b128 v[176:179], v204 offset:2160
	ds_load_b128 v[156:159], v204 offset:14400
	;; [unrolled: 1-line block ×8, first 2 shown]
	v_add_co_u32 v199, s0, s8, v204
	s_wait_alu 0xf1ff
	v_add_co_ci_u32_e64 v200, null, s9, 0, s0
	s_and_saveexec_b32 s0, vcc_lo
	s_cbranch_execz .LBB0_11
; %bb.10:
	ds_load_b128 v[180:183], v204 offset:6480
	ds_load_b128 v[184:187], v204 offset:13680
	;; [unrolled: 1-line block ×3, first 2 shown]
.LBB0_11:
	s_wait_alu 0xfffe
	s_or_b32 exec_lo, exec_lo, s0
	s_clause 0x1
	global_load_b128 v[148:151], v[152:153], off offset:7120
	global_load_b128 v[152:155], v[152:153], off offset:7136
	v_lshlrev_b32_e32 v4, 5, v201
	s_wait_loadcnt_dscnt 0x104
	v_mul_f64_e32 v[0:1], v[162:163], v[150:151]
	v_mul_f64_e32 v[2:3], v[160:161], v[150:151]
	s_delay_alu instid0(VALU_DEP_2) | instskip(SKIP_2) | instid1(VALU_DEP_3)
	v_fma_f64 v[0:1], v[160:161], v[148:149], -v[0:1]
	s_wait_loadcnt 0x0
	v_mul_f64_e32 v[160:161], v[158:159], v[154:155]
	v_fma_f64 v[2:3], v[162:163], v[148:149], v[2:3]
	s_delay_alu instid0(VALU_DEP_2) | instskip(SKIP_1) | instid1(VALU_DEP_1)
	v_fma_f64 v[216:217], v[156:157], v[152:153], -v[160:161]
	v_mul_f64_e32 v[156:157], v[156:157], v[154:155]
	v_fma_f64 v[218:219], v[158:159], v[152:153], v[156:157]
	s_clause 0x1
	global_load_b128 v[156:159], v4, s[10:11] offset:7120
	global_load_b128 v[160:163], v4, s[10:11] offset:7136
	s_wait_loadcnt_dscnt 0x102
	v_mul_f64_e32 v[220:221], v[170:171], v[158:159]
	s_delay_alu instid0(VALU_DEP_1) | instskip(SKIP_1) | instid1(VALU_DEP_1)
	v_fma_f64 v[223:224], v[168:169], v[156:157], -v[220:221]
	v_mul_f64_e32 v[168:169], v[168:169], v[158:159]
	v_fma_f64 v[220:221], v[170:171], v[156:157], v[168:169]
	s_wait_loadcnt 0x0
	v_mul_f64_e32 v[168:169], v[166:167], v[162:163]
	s_delay_alu instid0(VALU_DEP_1) | instskip(SKIP_1) | instid1(VALU_DEP_1)
	v_fma_f64 v[225:226], v[164:165], v[160:161], -v[168:169]
	v_mul_f64_e32 v[164:165], v[164:165], v[162:163]
	v_fma_f64 v[227:228], v[166:167], v[160:161], v[164:165]
	v_lshlrev_b64_e32 v[164:165], 5, v[197:198]
	s_delay_alu instid0(VALU_DEP_1) | instskip(SKIP_1) | instid1(VALU_DEP_2)
	v_add_co_u32 v168, s0, s10, v164
	s_wait_alu 0xf1ff
	v_add_co_ci_u32_e64 v169, s0, s11, v165, s0
	s_clause 0x1
	global_load_b128 v[164:167], v[168:169], off offset:7120
	global_load_b128 v[168:171], v[168:169], off offset:7136
	v_add_co_u32 v4, s0, 0xffffffd3, v203
	s_wait_alu 0xf1ff
	v_add_co_ci_u32_e64 v5, null, 0, -1, s0
	s_wait_loadcnt_dscnt 0x101
	v_mul_f64_e32 v[197:198], v[146:147], v[166:167]
	s_delay_alu instid0(VALU_DEP_1) | instskip(SKIP_1) | instid1(VALU_DEP_1)
	v_fma_f64 v[235:236], v[144:145], v[164:165], -v[197:198]
	v_mul_f64_e32 v[144:145], v[144:145], v[166:167]
	v_fma_f64 v[231:232], v[146:147], v[164:165], v[144:145]
	s_wait_loadcnt_dscnt 0x0
	v_mul_f64_e32 v[144:145], v[142:143], v[170:171]
	s_delay_alu instid0(VALU_DEP_1) | instskip(SKIP_1) | instid1(VALU_DEP_1)
	v_fma_f64 v[237:238], v[140:141], v[168:169], -v[144:145]
	v_mul_f64_e32 v[140:141], v[140:141], v[170:171]
	v_fma_f64 v[233:234], v[142:143], v[168:169], v[140:141]
	v_dual_cndmask_b32 v141, v5, v215 :: v_dual_cndmask_b32 v140, v4, v202
	s_delay_alu instid0(VALU_DEP_1) | instskip(NEXT) | instid1(VALU_DEP_1)
	v_lshlrev_b64_e32 v[140:141], 5, v[140:141]
	v_add_co_u32 v144, s0, s10, v140
	s_wait_alu 0xf1ff
	s_delay_alu instid0(VALU_DEP_2)
	v_add_co_ci_u32_e64 v145, s0, s11, v141, s0
	s_clause 0x1
	global_load_b128 v[140:143], v[144:145], off offset:7120
	global_load_b128 v[144:147], v[144:145], off offset:7136
	s_mov_b32 s0, 0xe8584caa
	s_mov_b32 s1, 0x3febb67a
	;; [unrolled: 1-line block ×3, first 2 shown]
	s_wait_alu 0xfffe
	s_mov_b32 s10, s0
	s_wait_loadcnt 0x1
	v_mul_f64_e32 v[197:198], v[186:187], v[142:143]
	s_delay_alu instid0(VALU_DEP_1) | instskip(SKIP_1) | instid1(VALU_DEP_1)
	v_fma_f64 v[197:198], v[184:185], v[140:141], -v[197:198]
	v_mul_f64_e32 v[184:185], v[184:185], v[142:143]
	v_fma_f64 v[201:202], v[186:187], v[140:141], v[184:185]
	s_wait_loadcnt 0x0
	v_mul_f64_e32 v[184:185], v[194:195], v[146:147]
	v_mul_f64_e32 v[186:187], v[192:193], v[146:147]
	s_delay_alu instid0(VALU_DEP_2) | instskip(SKIP_1) | instid1(VALU_DEP_3)
	v_fma_f64 v[184:185], v[192:193], v[144:145], -v[184:185]
	v_add_f64_e32 v[192:193], v[0:1], v[216:217]
	v_fma_f64 v[186:187], v[194:195], v[144:145], v[186:187]
	s_delay_alu instid0(VALU_DEP_2) | instskip(SKIP_3) | instid1(VALU_DEP_3)
	v_fma_f64 v[194:195], v[192:193], -0.5, v[188:189]
	v_add_f64_e32 v[192:193], v[2:3], v[218:219]
	v_add_f64_e32 v[188:189], v[188:189], v[0:1]
	v_add_f64_e64 v[0:1], v[0:1], -v[216:217]
	v_fma_f64 v[229:230], v[192:193], -0.5, v[190:191]
	v_add_f64_e32 v[190:191], v[190:191], v[2:3]
	v_add_f64_e64 v[2:3], v[2:3], -v[218:219]
	v_add_f64_e32 v[188:189], v[188:189], v[216:217]
	s_delay_alu instid0(VALU_DEP_3) | instskip(NEXT) | instid1(VALU_DEP_3)
	v_add_f64_e32 v[190:191], v[190:191], v[218:219]
	v_fma_f64 v[192:193], v[2:3], s[0:1], v[194:195]
	s_wait_alu 0xfffe
	v_fma_f64 v[215:216], v[2:3], s[10:11], v[194:195]
	v_fma_f64 v[194:195], v[0:1], s[10:11], v[229:230]
	;; [unrolled: 1-line block ×3, first 2 shown]
	v_add_f64_e32 v[0:1], v[223:224], v[225:226]
	v_add_f64_e32 v[2:3], v[220:221], v[227:228]
	v_add_f64_e64 v[229:230], v[220:221], -v[227:228]
	s_delay_alu instid0(VALU_DEP_3) | instskip(NEXT) | instid1(VALU_DEP_3)
	v_fma_f64 v[0:1], v[0:1], -0.5, v[176:177]
	v_fma_f64 v[2:3], v[2:3], -0.5, v[178:179]
	v_add_f64_e32 v[178:179], v[178:179], v[220:221]
	v_add_f64_e32 v[176:177], v[176:177], v[223:224]
	s_delay_alu instid0(VALU_DEP_2) | instskip(NEXT) | instid1(VALU_DEP_2)
	v_add_f64_e32 v[221:222], v[178:179], v[227:228]
	v_add_f64_e32 v[219:220], v[176:177], v[225:226]
	v_add_f64_e64 v[176:177], v[223:224], -v[225:226]
	v_fma_f64 v[223:224], v[229:230], s[0:1], v[0:1]
	v_fma_f64 v[227:228], v[229:230], s[10:11], v[0:1]
	v_add_f64_e32 v[0:1], v[235:236], v[237:238]
	s_delay_alu instid0(VALU_DEP_4) | instskip(SKIP_2) | instid1(VALU_DEP_4)
	v_fma_f64 v[225:226], v[176:177], s[10:11], v[2:3]
	v_fma_f64 v[229:230], v[176:177], s[0:1], v[2:3]
	v_add_f64_e32 v[2:3], v[231:232], v[233:234]
	v_fma_f64 v[0:1], v[0:1], -0.5, v[172:173]
	v_add_f64_e32 v[172:173], v[172:173], v[235:236]
	v_add_f64_e64 v[176:177], v[231:232], -v[233:234]
	s_delay_alu instid0(VALU_DEP_4) | instskip(SKIP_1) | instid1(VALU_DEP_4)
	v_fma_f64 v[2:3], v[2:3], -0.5, v[174:175]
	v_add_f64_e32 v[174:175], v[174:175], v[231:232]
	v_add_f64_e32 v[231:232], v[172:173], v[237:238]
	v_add_f64_e64 v[172:173], v[235:236], -v[237:238]
	v_fma_f64 v[235:236], v[176:177], s[0:1], v[0:1]
	v_fma_f64 v[239:240], v[176:177], s[10:11], v[0:1]
	v_add_f64_e32 v[0:1], v[197:198], v[184:185]
	v_add_f64_e32 v[233:234], v[174:175], v[233:234]
	v_add_f64_e64 v[174:175], v[201:202], -v[186:187]
	v_fma_f64 v[237:238], v[172:173], s[10:11], v[2:3]
	v_fma_f64 v[241:242], v[172:173], s[0:1], v[2:3]
	v_add_f64_e32 v[2:3], v[201:202], v[186:187]
	v_fma_f64 v[0:1], v[0:1], -0.5, v[180:181]
	ds_store_b128 v204, v[188:191]
	ds_store_b128 v204, v[219:222] offset:2160
	ds_store_b128 v204, v[215:218] offset:14400
	;; [unrolled: 1-line block ×8, first 2 shown]
	v_fma_f64 v[2:3], v[2:3], -0.5, v[182:183]
	v_fma_f64 v[172:173], v[174:175], s[0:1], v[0:1]
	v_fma_f64 v[176:177], v[174:175], s[10:11], v[0:1]
	v_add_f64_e64 v[0:1], v[197:198], -v[184:185]
	s_delay_alu instid0(VALU_DEP_1)
	v_fma_f64 v[174:175], v[0:1], s[10:11], v[2:3]
	v_fma_f64 v[178:179], v[0:1], s[0:1], v[2:3]
	s_and_saveexec_b32 s0, vcc_lo
	s_cbranch_execz .LBB0_13
; %bb.12:
	v_add_f64_e32 v[0:1], v[182:183], v[201:202]
	v_add_f64_e32 v[2:3], v[180:181], v[197:198]
	s_delay_alu instid0(VALU_DEP_2) | instskip(NEXT) | instid1(VALU_DEP_2)
	v_add_f64_e32 v[182:183], v[0:1], v[186:187]
	v_add_f64_e32 v[180:181], v[2:3], v[184:185]
	ds_store_b128 v204, v[180:183] offset:6480
	ds_store_b128 v204, v[172:175] offset:13680
	;; [unrolled: 1-line block ×3, first 2 shown]
.LBB0_13:
	s_wait_alu 0xfffe
	s_or_b32 exec_lo, exec_lo, s0
	global_wb scope:SCOPE_SE
	s_wait_dscnt 0x0
	s_barrier_signal -1
	s_barrier_wait -1
	global_inv scope:SCOPE_SE
	global_load_b128 v[180:183], v[199:200], off offset:21600
	v_lshlrev_b32_e32 v4, 4, v203
	s_add_nc_u64 s[0:1], s[8:9], 0x5460
	ds_load_b128 v[184:187], v204
	ds_load_b128 v[188:191], v204 offset:2160
	s_mov_b32 s10, 0x134454ff
	s_mov_b32 s11, 0xbfee6f0e
	global_load_b128 v[192:195], v4, s[0:1] offset:4320
	ds_load_b128 v[197:200], v204 offset:4320
	ds_load_b128 v[215:218], v204 offset:6480
	global_load_b128 v[219:222], v4, s[0:1] offset:2160
	s_mov_b32 s15, 0x3fee6f0e
	s_wait_alu 0xfffe
	s_mov_b32 s14, s10
	s_mov_b32 s8, 0x4755a5e
	;; [unrolled: 1-line block ×6, first 2 shown]
	s_wait_alu 0xfffe
	s_mov_b32 s18, s12
	s_mov_b32 s16, 0x9b97f4a8
	;; [unrolled: 1-line block ×3, first 2 shown]
	s_wait_loadcnt_dscnt 0x203
	v_mul_f64_e32 v[0:1], v[186:187], v[182:183]
	v_mul_f64_e32 v[2:3], v[184:185], v[182:183]
	s_delay_alu instid0(VALU_DEP_2) | instskip(NEXT) | instid1(VALU_DEP_2)
	v_fma_f64 v[182:183], v[184:185], v[180:181], -v[0:1]
	v_fma_f64 v[184:185], v[186:187], v[180:181], v[2:3]
	s_wait_loadcnt_dscnt 0x101
	v_mul_f64_e32 v[0:1], v[199:200], v[194:195]
	v_mul_f64_e32 v[2:3], v[197:198], v[194:195]
	s_delay_alu instid0(VALU_DEP_2) | instskip(NEXT) | instid1(VALU_DEP_2)
	v_fma_f64 v[197:198], v[197:198], v[192:193], -v[0:1]
	v_fma_f64 v[199:200], v[199:200], v[192:193], v[2:3]
	global_load_b128 v[192:195], v4, s[0:1] offset:8640
	ds_load_b128 v[223:226], v204 offset:8640
	ds_load_b128 v[227:230], v204 offset:10800
	global_load_b128 v[231:234], v4, s[0:1] offset:6480
	s_wait_loadcnt_dscnt 0x101
	v_mul_f64_e32 v[0:1], v[225:226], v[194:195]
	v_mul_f64_e32 v[2:3], v[223:224], v[194:195]
	s_delay_alu instid0(VALU_DEP_2) | instskip(NEXT) | instid1(VALU_DEP_2)
	v_fma_f64 v[223:224], v[223:224], v[192:193], -v[0:1]
	v_fma_f64 v[225:226], v[225:226], v[192:193], v[2:3]
	global_load_b128 v[192:195], v4, s[0:1] offset:12960
	ds_load_b128 v[235:238], v204 offset:12960
	ds_load_b128 v[239:242], v204 offset:15120
	global_load_b128 v[243:246], v4, s[0:1] offset:10800
	s_wait_loadcnt_dscnt 0x101
	v_mul_f64_e32 v[0:1], v[237:238], v[194:195]
	v_mul_f64_e32 v[2:3], v[235:236], v[194:195]
	s_delay_alu instid0(VALU_DEP_2) | instskip(NEXT) | instid1(VALU_DEP_2)
	v_fma_f64 v[235:236], v[235:236], v[192:193], -v[0:1]
	v_fma_f64 v[237:238], v[237:238], v[192:193], v[2:3]
	s_clause 0x1
	global_load_b128 v[192:195], v4, s[0:1] offset:17280
	global_load_b128 v[247:250], v4, s[0:1] offset:15120
	ds_load_b128 v[251:254], v204 offset:17280
	ds_load_b128 v[0:3], v204 offset:19440
	s_wait_loadcnt_dscnt 0x101
	v_mul_f64_e32 v[180:181], v[253:254], v[194:195]
	v_mul_f64_e32 v[186:187], v[251:252], v[194:195]
	;; [unrolled: 1-line block ×3, first 2 shown]
	s_delay_alu instid0(VALU_DEP_3) | instskip(SKIP_1) | instid1(VALU_DEP_4)
	v_fma_f64 v[251:252], v[251:252], v[192:193], -v[180:181]
	v_mul_f64_e32 v[180:181], v[190:191], v[221:222]
	v_fma_f64 v[253:254], v[253:254], v[192:193], v[186:187]
	v_mul_f64_e32 v[192:193], v[188:189], v[221:222]
	s_delay_alu instid0(VALU_DEP_3) | instskip(SKIP_1) | instid1(VALU_DEP_3)
	v_fma_f64 v[186:187], v[188:189], v[219:220], -v[180:181]
	v_mul_f64_e32 v[180:181], v[217:218], v[233:234]
	v_fma_f64 v[188:189], v[190:191], v[219:220], v[192:193]
	v_mul_f64_e32 v[192:193], v[215:216], v[233:234]
	s_delay_alu instid0(VALU_DEP_3) | instskip(SKIP_1) | instid1(VALU_DEP_3)
	v_fma_f64 v[190:191], v[215:216], v[231:232], -v[180:181]
	v_mul_f64_e32 v[180:181], v[229:230], v[245:246]
	v_fma_f64 v[192:193], v[217:218], v[231:232], v[192:193]
	v_fma_f64 v[217:218], v[229:230], v[243:244], v[194:195]
	s_wait_loadcnt 0x0
	v_mul_f64_e32 v[194:195], v[239:240], v[249:250]
	s_delay_alu instid0(VALU_DEP_4)
	v_fma_f64 v[215:216], v[227:228], v[243:244], -v[180:181]
	global_load_b128 v[227:230], v4, s[0:1] offset:19440
	v_mul_f64_e32 v[180:181], v[241:242], v[249:250]
	v_fma_f64 v[221:222], v[241:242], v[247:248], v[194:195]
	s_mov_b32 s1, 0x3fe2cf23
	s_mov_b32 s0, s8
	s_delay_alu instid0(VALU_DEP_2) | instskip(SKIP_3) | instid1(VALU_DEP_2)
	v_fma_f64 v[219:220], v[239:240], v[247:248], -v[180:181]
	s_wait_loadcnt_dscnt 0x0
	v_mul_f64_e32 v[180:181], v[2:3], v[229:230]
	v_mul_f64_e32 v[194:195], v[0:1], v[229:230]
	v_fma_f64 v[0:1], v[0:1], v[227:228], -v[180:181]
	s_delay_alu instid0(VALU_DEP_2)
	v_fma_f64 v[2:3], v[2:3], v[227:228], v[194:195]
	ds_store_b128 v204, v[182:185]
	ds_store_b128 v204, v[186:189] offset:2160
	ds_store_b128 v204, v[197:200] offset:4320
	;; [unrolled: 1-line block ×9, first 2 shown]
	global_wb scope:SCOPE_SE
	s_wait_dscnt 0x0
	s_barrier_signal -1
	s_barrier_wait -1
	global_inv scope:SCOPE_SE
	ds_load_b128 v[0:3], v204
	ds_load_b128 v[180:183], v204 offset:4320
	ds_load_b128 v[184:187], v204 offset:6480
	;; [unrolled: 1-line block ×7, first 2 shown]
	s_wait_dscnt 0x6
	v_add_f64_e32 v[201:202], v[0:1], v[180:181]
	v_add_f64_e32 v[223:224], v[2:3], v[182:183]
	s_wait_dscnt 0x3
	v_add_f64_e32 v[227:228], v[180:181], v[192:193]
	v_add_f64_e32 v[229:230], v[182:183], v[194:195]
	v_add_f64_e64 v[231:232], v[182:183], -v[194:195]
	v_add_f64_e64 v[233:234], v[180:181], -v[192:193]
	s_wait_dscnt 0x1
	v_add_f64_e64 v[235:236], v[180:181], -v[215:216]
	v_add_f64_e64 v[237:238], v[215:216], -v[180:181]
	v_add_f64_e64 v[239:240], v[182:183], -v[217:218]
	v_add_f64_e64 v[241:242], v[217:218], -v[182:183]
	v_add_f64_e64 v[4:5], v[184:185], -v[197:198]
	s_wait_dscnt 0x0
	v_add_f64_e64 v[6:7], v[184:185], -v[219:220]
	v_add_f64_e64 v[8:9], v[219:220], -v[184:185]
	;; [unrolled: 1-line block ×5, first 2 shown]
	v_add_f64_e32 v[201:202], v[201:202], v[215:216]
	v_add_f64_e32 v[243:244], v[223:224], v[217:218]
	ds_load_b128 v[180:183], v204 offset:12960
	ds_load_b128 v[223:226], v204 offset:15120
	global_wb scope:SCOPE_SE
	s_wait_dscnt 0x0
	s_barrier_signal -1
	s_barrier_wait -1
	global_inv scope:SCOPE_SE
	v_add_f64_e32 v[245:246], v[215:216], v[180:181]
	v_add_f64_e64 v[215:216], v[215:216], -v[180:181]
	v_add_f64_e64 v[249:250], v[192:193], -v[180:181]
	;; [unrolled: 1-line block ×3, first 2 shown]
	v_add_f64_e32 v[247:248], v[217:218], v[182:183]
	v_add_f64_e64 v[217:218], v[217:218], -v[182:183]
	v_add_f64_e64 v[253:254], v[194:195], -v[182:183]
	;; [unrolled: 1-line block ×3, first 2 shown]
	v_add_f64_e32 v[16:17], v[219:220], v[223:224]
	v_add_f64_e32 v[18:19], v[221:222], v[225:226]
	v_add_f64_e64 v[20:21], v[197:198], -v[223:224]
	v_add_f64_e64 v[22:23], v[223:224], -v[197:198]
	v_add_f64_e32 v[201:202], v[201:202], v[180:181]
	v_add_f64_e32 v[243:244], v[243:244], v[182:183]
	;; [unrolled: 1-line block ×3, first 2 shown]
	v_fma_f64 v[16:17], v[16:17], -0.5, v[188:189]
	v_fma_f64 v[18:19], v[18:19], -0.5, v[190:191]
	v_add_f64_e32 v[6:7], v[6:7], v[20:21]
	v_add_f64_e32 v[8:9], v[8:9], v[22:23]
	;; [unrolled: 1-line block ×9, first 2 shown]
	v_fma_f64 v[192:193], v[229:230], -0.5, v[2:3]
	v_add_f64_e32 v[184:185], v[194:195], v[221:222]
	v_add_f64_e64 v[221:222], v[221:222], -v[225:226]
	v_add_f64_e64 v[219:220], v[219:220], -v[223:224]
	v_add_f64_e32 v[194:195], v[237:238], v[251:252]
	v_add_f64_e32 v[229:230], v[239:240], v[253:254]
	;; [unrolled: 1-line block ×3, first 2 shown]
	v_add_f64_e64 v[223:224], v[199:200], -v[225:226]
	v_add_f64_e32 v[186:187], v[184:185], v[225:226]
	v_add_f64_e64 v[225:226], v[225:226], -v[199:200]
	s_delay_alu instid0(VALU_DEP_4) | instskip(SKIP_1) | instid1(VALU_DEP_4)
	v_add_f64_e32 v[184:185], v[14:15], v[197:198]
	v_fma_f64 v[14:15], v[227:228], -0.5, v[0:1]
	v_add_f64_e32 v[186:187], v[186:187], v[199:200]
	v_fma_f64 v[197:198], v[245:246], -0.5, v[0:1]
	v_fma_f64 v[199:200], v[247:248], -0.5, v[2:3]
	v_fma_f64 v[2:3], v[215:216], s[10:11], v[192:193]
	v_fma_f64 v[192:193], v[215:216], s[14:15], v[192:193]
	v_add_f64_e32 v[12:13], v[12:13], v[225:226]
	v_add_f64_e32 v[10:11], v[10:11], v[223:224]
	v_fma_f64 v[0:1], v[217:218], s[14:15], v[14:15]
	v_fma_f64 v[14:15], v[217:218], s[10:11], v[14:15]
	s_wait_alu 0xfffe
	v_fma_f64 v[2:3], v[233:234], s[0:1], v[2:3]
	v_fma_f64 v[227:228], v[233:234], s[8:9], v[192:193]
	s_delay_alu instid0(VALU_DEP_4) | instskip(NEXT) | instid1(VALU_DEP_4)
	v_fma_f64 v[0:1], v[231:232], s[8:9], v[0:1]
	v_fma_f64 v[14:15], v[231:232], s[0:1], v[14:15]
	s_delay_alu instid0(VALU_DEP_4) | instskip(NEXT) | instid1(VALU_DEP_3)
	v_fma_f64 v[2:3], v[208:209], s[12:13], v[2:3]
	v_fma_f64 v[0:1], v[194:195], s[12:13], v[0:1]
	s_delay_alu instid0(VALU_DEP_3)
	v_fma_f64 v[192:193], v[194:195], s[12:13], v[14:15]
	v_fma_f64 v[194:195], v[208:209], s[12:13], v[227:228]
	v_fma_f64 v[14:15], v[231:232], s[10:11], v[197:198]
	v_fma_f64 v[208:209], v[233:234], s[14:15], v[199:200]
	v_fma_f64 v[197:198], v[231:232], s[14:15], v[197:198]
	v_fma_f64 v[199:200], v[233:234], s[10:11], v[199:200]
	v_add_f64_e32 v[227:228], v[235:236], v[249:250]
	v_fma_f64 v[14:15], v[217:218], s[8:9], v[14:15]
	v_fma_f64 v[208:209], v[215:216], s[0:1], v[208:209]
	;; [unrolled: 1-line block ×4, first 2 shown]
	s_delay_alu instid0(VALU_DEP_4) | instskip(NEXT) | instid1(VALU_DEP_4)
	v_fma_f64 v[197:198], v[227:228], s[12:13], v[14:15]
	v_fma_f64 v[199:200], v[229:230], s[12:13], v[208:209]
	s_delay_alu instid0(VALU_DEP_4) | instskip(NEXT) | instid1(VALU_DEP_4)
	v_fma_f64 v[215:216], v[227:228], s[12:13], v[217:218]
	v_fma_f64 v[217:218], v[229:230], s[12:13], v[231:232]
	v_fma_f64 v[14:15], v[201:202], -0.5, v[188:189]
	ds_store_b128 v211, v[180:183]
	ds_store_b128 v211, v[197:200] offset:16
	ds_store_b128 v211, v[0:3] offset:32
	;; [unrolled: 1-line block ×4, first 2 shown]
	v_fma_f64 v[180:181], v[243:244], -0.5, v[190:191]
	v_fma_f64 v[0:1], v[221:222], s[14:15], v[14:15]
	v_fma_f64 v[14:15], v[221:222], s[10:11], v[14:15]
	s_delay_alu instid0(VALU_DEP_3) | instskip(SKIP_1) | instid1(VALU_DEP_4)
	v_fma_f64 v[2:3], v[219:220], s[10:11], v[180:181]
	v_fma_f64 v[22:23], v[219:220], s[14:15], v[180:181]
	;; [unrolled: 1-line block ×3, first 2 shown]
	s_delay_alu instid0(VALU_DEP_4) | instskip(NEXT) | instid1(VALU_DEP_4)
	v_fma_f64 v[14:15], v[212:213], s[0:1], v[14:15]
	v_fma_f64 v[2:3], v[4:5], s[0:1], v[2:3]
	s_delay_alu instid0(VALU_DEP_4) | instskip(NEXT) | instid1(VALU_DEP_4)
	v_fma_f64 v[22:23], v[4:5], s[8:9], v[22:23]
	v_fma_f64 v[0:1], v[8:9], s[12:13], v[0:1]
	s_delay_alu instid0(VALU_DEP_4)
	v_fma_f64 v[180:181], v[8:9], s[12:13], v[14:15]
	v_fma_f64 v[8:9], v[212:213], s[10:11], v[16:17]
	;; [unrolled: 1-line block ×10, first 2 shown]
	s_delay_alu instid0(VALU_DEP_4) | instskip(NEXT) | instid1(VALU_DEP_4)
	v_fma_f64 v[12:13], v[221:222], s[0:1], v[12:13]
	v_fma_f64 v[188:189], v[6:7], s[12:13], v[8:9]
	s_delay_alu instid0(VALU_DEP_4) | instskip(NEXT) | instid1(VALU_DEP_4)
	v_fma_f64 v[190:191], v[10:11], s[12:13], v[14:15]
	v_fma_f64 v[194:195], v[10:11], s[12:13], v[4:5]
	s_delay_alu instid0(VALU_DEP_4)
	v_fma_f64 v[192:193], v[6:7], s[12:13], v[12:13]
	ds_store_b128 v207, v[184:187]
	ds_store_b128 v207, v[188:191] offset:16
	ds_store_b128 v207, v[0:3] offset:32
	ds_store_b128 v207, v[180:183] offset:48
	ds_store_b128 v207, v[192:195] offset:64
	global_wb scope:SCOPE_SE
	s_wait_dscnt 0x0
	s_barrier_signal -1
	s_barrier_wait -1
	global_inv scope:SCOPE_SE
	ds_load_b128 v[0:3], v204 offset:6480
	ds_load_b128 v[180:183], v204 offset:4320
	s_wait_dscnt 0x1
	v_mul_f64_e32 v[4:5], v[74:75], v[0:1]
	s_delay_alu instid0(VALU_DEP_1) | instskip(SKIP_1) | instid1(VALU_DEP_1)
	v_fma_f64 v[4:5], v[72:73], v[2:3], -v[4:5]
	v_mul_f64_e32 v[2:3], v[74:75], v[2:3]
	v_fma_f64 v[6:7], v[72:73], v[0:1], v[2:3]
	ds_load_b128 v[0:3], v204 offset:10800
	ds_load_b128 v[72:75], v204 offset:8640
	s_wait_dscnt 0x1
	v_mul_f64_e32 v[8:9], v[50:51], v[0:1]
	s_delay_alu instid0(VALU_DEP_1) | instskip(SKIP_1) | instid1(VALU_DEP_1)
	v_fma_f64 v[8:9], v[48:49], v[2:3], -v[8:9]
	v_mul_f64_e32 v[2:3], v[50:51], v[2:3]
	v_fma_f64 v[10:11], v[48:49], v[0:1], v[2:3]
	ds_load_b128 v[0:3], v204 offset:15120
	ds_load_b128 v[48:51], v204 offset:12960
	s_wait_dscnt 0x1
	v_mul_f64_e32 v[12:13], v[46:47], v[0:1]
	s_delay_alu instid0(VALU_DEP_1) | instskip(SKIP_1) | instid1(VALU_DEP_2)
	v_fma_f64 v[12:13], v[44:45], v[2:3], -v[12:13]
	v_mul_f64_e32 v[2:3], v[46:47], v[2:3]
	v_add_f64_e64 v[199:200], v[8:9], -v[12:13]
	s_delay_alu instid0(VALU_DEP_2)
	v_fma_f64 v[14:15], v[44:45], v[0:1], v[2:3]
	ds_load_b128 v[0:3], v204 offset:19440
	ds_load_b128 v[44:47], v204 offset:17280
	s_wait_dscnt 0x1
	v_mul_f64_e32 v[16:17], v[70:71], v[0:1]
	v_add_f64_e64 v[194:195], v[10:11], -v[14:15]
	s_delay_alu instid0(VALU_DEP_2) | instskip(SKIP_1) | instid1(VALU_DEP_2)
	v_fma_f64 v[16:17], v[68:69], v[2:3], -v[16:17]
	v_mul_f64_e32 v[2:3], v[70:71], v[2:3]
	v_add_f64_e64 v[197:198], v[4:5], -v[16:17]
	s_delay_alu instid0(VALU_DEP_2) | instskip(SKIP_1) | instid1(VALU_DEP_2)
	v_fma_f64 v[18:19], v[68:69], v[0:1], v[2:3]
	v_mul_f64_e32 v[0:1], v[66:67], v[182:183]
	v_add_f64_e64 v[192:193], v[6:7], -v[18:19]
	s_delay_alu instid0(VALU_DEP_2) | instskip(SKIP_1) | instid1(VALU_DEP_1)
	v_fma_f64 v[20:21], v[64:65], v[180:181], v[0:1]
	v_mul_f64_e32 v[0:1], v[66:67], v[180:181]
	v_fma_f64 v[22:23], v[64:65], v[182:183], -v[0:1]
	v_mul_f64_e32 v[0:1], v[62:63], v[74:75]
	s_delay_alu instid0(VALU_DEP_1) | instskip(SKIP_1) | instid1(VALU_DEP_1)
	v_fma_f64 v[64:65], v[60:61], v[72:73], v[0:1]
	v_mul_f64_e32 v[0:1], v[62:63], v[72:73]
	v_fma_f64 v[60:61], v[60:61], v[74:75], -v[0:1]
	v_mul_f64_e32 v[0:1], v[58:59], v[50:51]
	s_delay_alu instid0(VALU_DEP_1) | instskip(SKIP_1) | instid1(VALU_DEP_2)
	v_fma_f64 v[62:63], v[56:57], v[48:49], v[0:1]
	v_mul_f64_e32 v[0:1], v[58:59], v[48:49]
	v_add_f64_e64 v[215:216], v[64:65], -v[62:63]
	s_delay_alu instid0(VALU_DEP_2) | instskip(SKIP_2) | instid1(VALU_DEP_2)
	v_fma_f64 v[56:57], v[56:57], v[50:51], -v[0:1]
	s_wait_dscnt 0x0
	v_mul_f64_e32 v[0:1], v[54:55], v[46:47]
	v_add_f64_e64 v[207:208], v[60:61], -v[56:57]
	s_delay_alu instid0(VALU_DEP_2) | instskip(SKIP_1) | instid1(VALU_DEP_2)
	v_fma_f64 v[58:59], v[52:53], v[44:45], v[0:1]
	v_mul_f64_e32 v[0:1], v[54:55], v[44:45]
	v_add_f64_e64 v[211:212], v[20:21], -v[58:59]
	s_delay_alu instid0(VALU_DEP_2)
	v_fma_f64 v[66:67], v[52:53], v[46:47], -v[0:1]
	ds_load_b128 v[0:3], v204 offset:2160
	ds_load_b128 v[44:47], v204
	global_wb scope:SCOPE_SE
	s_wait_dscnt 0x0
	s_barrier_signal -1
	s_barrier_wait -1
	global_inv scope:SCOPE_SE
	v_mul_f64_e32 v[48:49], v[42:43], v[0:1]
	v_add_f64_e64 v[201:202], v[22:23], -v[66:67]
	s_delay_alu instid0(VALU_DEP_2) | instskip(SKIP_1) | instid1(VALU_DEP_1)
	v_fma_f64 v[68:69], v[40:41], v[2:3], -v[48:49]
	v_mul_f64_e32 v[2:3], v[42:43], v[2:3]
	v_fma_f64 v[40:41], v[40:41], v[0:1], v[2:3]
	v_add_f64_e32 v[0:1], v[64:65], v[62:63]
	v_add_f64_e32 v[2:3], v[46:47], v[22:23]
	s_delay_alu instid0(VALU_DEP_2) | instskip(SKIP_1) | instid1(VALU_DEP_3)
	v_fma_f64 v[42:43], v[0:1], -0.5, v[44:45]
	v_add_f64_e32 v[0:1], v[20:21], v[58:59]
	v_add_f64_e32 v[2:3], v[2:3], v[60:61]
	s_delay_alu instid0(VALU_DEP_2) | instskip(SKIP_1) | instid1(VALU_DEP_3)
	v_fma_f64 v[70:71], v[0:1], -0.5, v[44:45]
	;; [unrolled: 4-line block ×3, first 2 shown]
	v_add_f64_e32 v[0:1], v[22:23], v[66:67]
	v_add_f64_e32 v[50:51], v[2:3], v[66:67]
	s_delay_alu instid0(VALU_DEP_2) | instskip(SKIP_3) | instid1(VALU_DEP_3)
	v_fma_f64 v[74:75], v[0:1], -0.5, v[46:47]
	v_add_f64_e32 v[0:1], v[44:45], v[20:21]
	v_add_f64_e32 v[44:45], v[40:41], v[6:7]
	;; [unrolled: 1-line block ×4, first 2 shown]
	s_delay_alu instid0(VALU_DEP_3) | instskip(NEXT) | instid1(VALU_DEP_3)
	v_add_f64_e32 v[44:45], v[44:45], v[10:11]
	v_add_f64_e32 v[46:47], v[46:47], v[8:9]
	s_delay_alu instid0(VALU_DEP_3) | instskip(NEXT) | instid1(VALU_DEP_3)
	v_add_f64_e32 v[0:1], v[0:1], v[62:63]
	v_add_f64_e32 v[44:45], v[44:45], v[14:15]
	;; [unrolled: 3-line block ×4, first 2 shown]
	s_delay_alu instid0(VALU_DEP_2) | instskip(NEXT) | instid1(VALU_DEP_2)
	v_add_f64_e32 v[0:1], v[48:49], v[44:45]
	v_add_f64_e32 v[2:3], v[50:51], v[46:47]
	v_add_f64_e64 v[44:45], v[48:49], -v[44:45]
	v_add_f64_e64 v[46:47], v[50:51], -v[46:47]
	;; [unrolled: 1-line block ×4, first 2 shown]
	s_delay_alu instid0(VALU_DEP_1) | instskip(SKIP_2) | instid1(VALU_DEP_1)
	v_add_f64_e32 v[180:181], v[48:49], v[50:51]
	v_add_f64_e64 v[48:49], v[6:7], -v[10:11]
	v_add_f64_e64 v[50:51], v[18:19], -v[14:15]
	v_add_f64_e32 v[182:183], v[48:49], v[50:51]
	v_add_f64_e64 v[48:49], v[20:21], -v[64:65]
	v_add_f64_e64 v[50:51], v[58:59], -v[62:63]
	s_delay_alu instid0(VALU_DEP_1) | instskip(SKIP_2) | instid1(VALU_DEP_1)
	v_add_f64_e32 v[184:185], v[48:49], v[50:51]
	v_add_f64_e64 v[48:49], v[22:23], -v[60:61]
	v_add_f64_e64 v[50:51], v[66:67], -v[56:57]
	v_add_f64_e32 v[186:187], v[48:49], v[50:51]
	v_add_f64_e32 v[48:49], v[8:9], v[12:13]
	v_add_f64_e64 v[8:9], v[8:9], -v[4:5]
	v_add_f64_e32 v[4:5], v[4:5], v[16:17]
	v_add_f64_e64 v[12:13], v[12:13], -v[16:17]
	v_add_f64_e64 v[16:17], v[64:65], -v[20:21]
	;; [unrolled: 1-line block ×4, first 2 shown]
	v_fma_f64 v[188:189], v[48:49], -0.5, v[68:69]
	v_add_f64_e32 v[48:49], v[10:11], v[14:15]
	v_add_f64_e64 v[10:11], v[10:11], -v[6:7]
	v_add_f64_e32 v[6:7], v[6:7], v[18:19]
	v_add_f64_e64 v[14:15], v[14:15], -v[18:19]
	v_add_f64_e64 v[18:19], v[62:63], -v[58:59]
	v_fma_f64 v[4:5], v[4:5], -0.5, v[68:69]
	v_add_f64_e32 v[8:9], v[8:9], v[12:13]
	v_fma_f64 v[190:191], v[48:49], -0.5, v[40:41]
	v_fma_f64 v[48:49], v[192:193], s[14:15], v[188:189]
	v_fma_f64 v[6:7], v[6:7], -0.5, v[40:41]
	v_add_f64_e32 v[10:11], v[10:11], v[14:15]
	v_add_f64_e32 v[12:13], v[16:17], v[18:19]
	v_fma_f64 v[16:17], v[194:195], s[10:11], v[4:5]
	v_fma_f64 v[4:5], v[194:195], s[14:15], v[4:5]
	v_add_f64_e32 v[14:15], v[20:21], v[22:23]
	v_fma_f64 v[22:23], v[215:216], s[10:11], v[74:75]
	v_fma_f64 v[50:51], v[197:198], s[10:11], v[190:191]
	;; [unrolled: 1-line block ×17, first 2 shown]
	v_mul_f64_e32 v[52:53], s[8:9], v[48:49]
	v_fma_f64 v[18:19], v[10:11], s[12:13], v[18:19]
	v_fma_f64 v[6:7], v[10:11], s[12:13], v[6:7]
	;; [unrolled: 1-line block ×3, first 2 shown]
	v_mul_f64_e32 v[20:21], s[10:11], v[16:17]
	v_mul_f64_e32 v[16:17], s[12:13], v[16:17]
	v_fma_f64 v[8:9], v[201:202], s[0:1], v[8:9]
	v_mul_f64_e32 v[48:49], s[16:17], v[48:49]
	v_fma_f64 v[52:53], v[50:51], s[16:17], v[52:53]
	s_mov_b32 s17, 0xbfe9e377
	v_fma_f64 v[10:11], v[211:212], s[8:9], v[10:11]
	v_fma_f64 v[20:21], v[18:19], s[12:13], v[20:21]
	;; [unrolled: 1-line block ×9, first 2 shown]
	v_add_f64_e32 v[58:59], v[22:23], v[16:17]
	v_fma_f64 v[18:19], v[201:202], s[8:9], v[18:19]
	v_add_f64_e64 v[62:63], v[22:23], -v[16:17]
	v_fma_f64 v[48:49], v[207:208], s[8:9], v[48:49]
	v_fma_f64 v[50:51], v[215:216], s[0:1], v[50:51]
	s_delay_alu instid0(VALU_DEP_4)
	v_fma_f64 v[18:19], v[12:13], s[12:13], v[18:19]
	v_mul_f64_e32 v[12:13], s[10:11], v[4:5]
	v_mul_f64_e32 v[4:5], s[18:19], v[4:5]
	v_fma_f64 v[217:218], v[184:185], s[12:13], v[48:49]
	v_fma_f64 v[219:220], v[186:187], s[12:13], v[50:51]
	v_add_f64_e32 v[56:57], v[18:19], v[20:21]
	v_fma_f64 v[12:13], v[6:7], s[18:19], v[12:13]
	v_fma_f64 v[4:5], v[6:7], s[14:15], v[4:5]
	v_fma_f64 v[6:7], v[197:198], s[14:15], v[190:191]
	v_add_f64_e32 v[48:49], v[217:218], v[52:53]
	v_add_f64_e32 v[50:51], v[219:220], v[54:55]
	v_add_f64_e64 v[52:53], v[217:218], -v[52:53]
	v_add_f64_e64 v[54:55], v[219:220], -v[54:55]
	;; [unrolled: 1-line block ×3, first 2 shown]
	v_add_f64_e32 v[64:65], v[8:9], v[12:13]
	v_add_f64_e32 v[66:67], v[10:11], v[4:5]
	v_add_f64_e64 v[70:71], v[10:11], -v[4:5]
	v_fma_f64 v[4:5], v[192:193], s[10:11], v[188:189]
	v_add_f64_e64 v[68:69], v[8:9], -v[12:13]
	v_fma_f64 v[8:9], v[201:202], s[14:15], v[42:43]
	v_fma_f64 v[10:11], v[211:212], s[10:11], v[72:73]
	;; [unrolled: 1-line block ×4, first 2 shown]
	s_delay_alu instid0(VALU_DEP_4) | instskip(NEXT) | instid1(VALU_DEP_4)
	v_fma_f64 v[8:9], v[207:208], s[0:1], v[8:9]
	v_fma_f64 v[10:11], v[215:216], s[8:9], v[10:11]
	s_delay_alu instid0(VALU_DEP_4) | instskip(NEXT) | instid1(VALU_DEP_4)
	v_fma_f64 v[6:7], v[182:183], s[12:13], v[6:7]
	v_fma_f64 v[4:5], v[180:181], s[12:13], v[4:5]
	;; [unrolled: 3-line block ×3, first 2 shown]
	s_delay_alu instid0(VALU_DEP_3) | instskip(SKIP_2) | instid1(VALU_DEP_2)
	v_mul_f64_e32 v[12:13], s[8:9], v[4:5]
	s_wait_alu 0xfffe
	v_mul_f64_e32 v[4:5], s[16:17], v[4:5]
	v_fma_f64 v[12:13], v[6:7], s[16:17], v[12:13]
	s_delay_alu instid0(VALU_DEP_2) | instskip(NEXT) | instid1(VALU_DEP_2)
	v_fma_f64 v[4:5], v[6:7], s[0:1], v[4:5]
	v_add_f64_e32 v[72:73], v[8:9], v[12:13]
	s_delay_alu instid0(VALU_DEP_2)
	v_add_f64_e32 v[74:75], v[10:11], v[4:5]
	v_add_f64_e64 v[40:41], v[8:9], -v[12:13]
	v_add_f64_e64 v[42:43], v[10:11], -v[4:5]
	ds_store_b128 v205, v[0:3]
	ds_store_b128 v205, v[48:51] offset:80
	ds_store_b128 v205, v[56:59] offset:160
	;; [unrolled: 1-line block ×9, first 2 shown]
	global_wb scope:SCOPE_SE
	s_wait_dscnt 0x0
	s_barrier_signal -1
	s_barrier_wait -1
	global_inv scope:SCOPE_SE
	ds_load_b128 v[48:51], v204
	ds_load_b128 v[44:47], v204 offset:2160
	ds_load_b128 v[68:71], v204 offset:14400
	;; [unrolled: 1-line block ×8, first 2 shown]
	s_and_saveexec_b32 s0, vcc_lo
	s_cbranch_execz .LBB0_15
; %bb.14:
	ds_load_b128 v[40:43], v204 offset:6480
	ds_load_b128 v[172:175], v204 offset:13680
	;; [unrolled: 1-line block ×3, first 2 shown]
.LBB0_15:
	s_wait_alu 0xfffe
	s_or_b32 exec_lo, exec_lo, s0
	s_wait_dscnt 0x4
	v_mul_f64_e32 v[0:1], v[90:91], v[182:183]
	v_mul_f64_e32 v[2:3], v[82:83], v[70:71]
	;; [unrolled: 1-line block ×4, first 2 shown]
	s_wait_dscnt 0x2
	v_mul_f64_e32 v[8:9], v[86:87], v[74:75]
	v_mul_f64_e32 v[10:11], v[78:79], v[58:59]
	;; [unrolled: 1-line block ×4, first 2 shown]
	s_wait_dscnt 0x1
	v_mul_f64_e32 v[16:17], v[98:99], v[62:63]
	v_mul_f64_e32 v[20:21], v[98:99], v[60:61]
	v_mul_f64_e32 v[78:79], v[106:107], v[174:175]
	s_wait_dscnt 0x0
	v_mul_f64_e32 v[82:83], v[102:103], v[178:179]
	v_mul_f64_e32 v[86:87], v[106:107], v[172:173]
	;; [unrolled: 1-line block ×5, first 2 shown]
	s_mov_b32 s0, 0xe8584caa
	s_mov_b32 s1, 0xbfebb67a
	;; [unrolled: 1-line block ×3, first 2 shown]
	s_wait_alu 0xfffe
	s_mov_b32 s8, s0
	global_wb scope:SCOPE_SE
	s_barrier_signal -1
	s_barrier_wait -1
	global_inv scope:SCOPE_SE
	v_fma_f64 v[0:1], v[88:89], v[180:181], v[0:1]
	v_fma_f64 v[2:3], v[80:81], v[68:69], v[2:3]
	v_fma_f64 v[4:5], v[88:89], v[182:183], -v[4:5]
	v_fma_f64 v[6:7], v[80:81], v[70:71], -v[6:7]
	v_fma_f64 v[8:9], v[84:85], v[72:73], v[8:9]
	v_fma_f64 v[10:11], v[76:77], v[56:57], v[10:11]
	v_fma_f64 v[12:13], v[84:85], v[74:75], -v[12:13]
	v_fma_f64 v[14:15], v[76:77], v[58:59], -v[14:15]
	v_fma_f64 v[16:17], v[96:97], v[60:61], v[16:17]
	v_fma_f64 v[20:21], v[96:97], v[62:63], -v[20:21]
	v_fma_f64 v[56:57], v[104:105], v[172:173], v[78:79]
	v_fma_f64 v[58:59], v[100:101], v[176:177], v[82:83]
	v_fma_f64 v[60:61], v[104:105], v[174:175], -v[86:87]
	v_fma_f64 v[62:63], v[100:101], v[178:179], -v[90:91]
	v_fma_f64 v[18:19], v[92:93], v[64:65], v[18:19]
	v_fma_f64 v[22:23], v[92:93], v[66:67], -v[22:23]
	v_add_f64_e32 v[80:81], v[48:49], v[0:1]
	v_add_f64_e32 v[64:65], v[0:1], v[2:3]
	v_add_f64_e64 v[96:97], v[0:1], -v[2:3]
	v_add_f64_e32 v[66:67], v[4:5], v[6:7]
	v_add_f64_e64 v[82:83], v[4:5], -v[6:7]
	v_add_f64_e32 v[68:69], v[8:9], v[10:11]
	v_add_f64_e32 v[4:5], v[50:51], v[4:5]
	;; [unrolled: 1-line block ×11, first 2 shown]
	v_add_f64_e64 v[60:61], v[60:61], -v[62:63]
	v_add_f64_e64 v[172:173], v[56:57], -v[58:59]
	;; [unrolled: 1-line block ×4, first 2 shown]
	v_add_f64_e32 v[88:89], v[52:53], v[16:17]
	v_add_f64_e32 v[90:91], v[54:55], v[20:21]
	v_add_f64_e64 v[20:21], v[20:21], -v[22:23]
	v_add_f64_e64 v[16:17], v[16:17], -v[18:19]
	v_add_f64_e32 v[0:1], v[80:81], v[2:3]
	v_fma_f64 v[64:65], v[64:65], -0.5, v[48:49]
	v_fma_f64 v[66:67], v[66:67], -0.5, v[50:51]
	;; [unrolled: 1-line block ×3, first 2 shown]
	v_add_f64_e32 v[2:3], v[4:5], v[6:7]
	v_fma_f64 v[100:101], v[70:71], -0.5, v[46:47]
	v_add_f64_e32 v[44:45], v[84:85], v[10:11]
	v_add_f64_e32 v[46:47], v[86:87], v[14:15]
	v_fma_f64 v[106:107], v[76:77], -0.5, v[40:41]
	v_add_f64_e32 v[40:41], v[92:93], v[58:59]
	v_fma_f64 v[174:175], v[78:79], -0.5, v[42:43]
	v_fma_f64 v[102:103], v[72:73], -0.5, v[52:53]
	;; [unrolled: 1-line block ×3, first 2 shown]
	v_add_f64_e32 v[42:43], v[94:95], v[62:63]
	v_add_f64_e32 v[48:49], v[88:89], v[18:19]
	;; [unrolled: 1-line block ×3, first 2 shown]
	v_fma_f64 v[52:53], v[82:83], s[0:1], v[64:65]
	s_wait_alu 0xfffe
	v_fma_f64 v[64:65], v[82:83], s[8:9], v[64:65]
	v_fma_f64 v[54:55], v[96:97], s[8:9], v[66:67]
	;; [unrolled: 1-line block ×15, first 2 shown]
	ds_store_b128 v206, v[0:3]
	ds_store_b128 v206, v[52:55] offset:800
	ds_store_b128 v206, v[64:67] offset:1600
	ds_store_b128 v210, v[44:47]
	ds_store_b128 v210, v[68:71] offset:800
	ds_store_b128 v210, v[72:75] offset:1600
	;; [unrolled: 3-line block ×3, first 2 shown]
	s_and_saveexec_b32 s0, vcc_lo
	s_cbranch_execz .LBB0_17
; %bb.16:
	scratch_load_b32 v0, off, off offset:104 th:TH_LOAD_LU ; 4-byte Folded Reload
	s_wait_loadcnt 0x0
	v_lshlrev_b32_e32 v0, 4, v0
	ds_store_b128 v0, v[40:43] offset:19200
	ds_store_b128 v0, v[56:59] offset:20000
	;; [unrolled: 1-line block ×3, first 2 shown]
.LBB0_17:
	s_wait_alu 0xfffe
	s_or_b32 exec_lo, exec_lo, s0
	global_wb scope:SCOPE_SE
	s_wait_dscnt 0x0
	s_barrier_signal -1
	s_barrier_wait -1
	global_inv scope:SCOPE_SE
	ds_load_b128 v[48:51], v204
	ds_load_b128 v[44:47], v204 offset:2160
	ds_load_b128 v[76:79], v204 offset:14400
	ds_load_b128 v[64:67], v204 offset:16560
	ds_load_b128 v[84:87], v204 offset:7200
	ds_load_b128 v[52:55], v204 offset:4320
	ds_load_b128 v[80:83], v204 offset:9360
	ds_load_b128 v[68:71], v204 offset:11520
	ds_load_b128 v[72:75], v204 offset:18720
	s_and_saveexec_b32 s0, vcc_lo
	s_cbranch_execz .LBB0_19
; %bb.18:
	ds_load_b128 v[40:43], v204 offset:6480
	ds_load_b128 v[56:59], v204 offset:13680
	;; [unrolled: 1-line block ×3, first 2 shown]
.LBB0_19:
	s_wait_alu 0xfffe
	s_or_b32 exec_lo, exec_lo, s0
	s_wait_dscnt 0x4
	v_mul_f64_e32 v[0:1], v[122:123], v[86:87]
	v_mul_f64_e32 v[2:3], v[114:115], v[78:79]
	;; [unrolled: 1-line block ×4, first 2 shown]
	s_wait_dscnt 0x2
	v_mul_f64_e32 v[8:9], v[118:119], v[82:83]
	v_mul_f64_e32 v[10:11], v[110:111], v[66:67]
	;; [unrolled: 1-line block ×4, first 2 shown]
	s_wait_dscnt 0x1
	v_mul_f64_e32 v[88:89], v[138:139], v[58:59]
	s_wait_dscnt 0x0
	v_mul_f64_e32 v[90:91], v[134:135], v[62:63]
	v_mul_f64_e32 v[92:93], v[138:139], v[56:57]
	v_mul_f64_e32 v[94:95], v[134:135], v[60:61]
	v_mul_f64_e32 v[16:17], v[130:131], v[70:71]
	v_mul_f64_e32 v[18:19], v[126:127], v[74:75]
	v_mul_f64_e32 v[20:21], v[130:131], v[68:69]
	v_mul_f64_e32 v[22:23], v[126:127], v[72:73]
	s_mov_b32 s0, 0xe8584caa
	s_mov_b32 s1, 0xbfebb67a
	s_wait_alu 0xfffe
	s_mov_b32 s8, s0
	global_wb scope:SCOPE_SE
	s_barrier_signal -1
	s_barrier_wait -1
	global_inv scope:SCOPE_SE
	v_fma_f64 v[0:1], v[120:121], v[84:85], v[0:1]
	v_fma_f64 v[2:3], v[112:113], v[76:77], v[2:3]
	v_fma_f64 v[4:5], v[120:121], v[86:87], -v[4:5]
	v_fma_f64 v[6:7], v[112:113], v[78:79], -v[6:7]
	v_fma_f64 v[8:9], v[116:117], v[80:81], v[8:9]
	v_fma_f64 v[10:11], v[108:109], v[64:65], v[10:11]
	v_fma_f64 v[12:13], v[116:117], v[82:83], -v[12:13]
	v_fma_f64 v[14:15], v[108:109], v[66:67], -v[14:15]
	;; [unrolled: 4-line block ×4, first 2 shown]
	v_add_f64_e32 v[80:81], v[48:49], v[0:1]
	v_add_f64_e32 v[64:65], v[0:1], v[2:3]
	v_add_f64_e64 v[96:97], v[0:1], -v[2:3]
	v_add_f64_e32 v[66:67], v[4:5], v[6:7]
	v_add_f64_e64 v[82:83], v[4:5], -v[6:7]
	v_add_f64_e32 v[68:69], v[8:9], v[10:11]
	v_add_f64_e32 v[4:5], v[50:51], v[4:5]
	;; [unrolled: 1-line block ×11, first 2 shown]
	v_add_f64_e64 v[12:13], v[12:13], -v[14:15]
	v_add_f64_e64 v[8:9], v[8:9], -v[10:11]
	;; [unrolled: 1-line block ×4, first 2 shown]
	v_add_f64_e32 v[88:89], v[52:53], v[16:17]
	v_add_f64_e32 v[90:91], v[54:55], v[20:21]
	v_add_f64_e64 v[20:21], v[20:21], -v[22:23]
	v_add_f64_e64 v[16:17], v[16:17], -v[18:19]
	v_add_f64_e32 v[0:1], v[80:81], v[2:3]
	v_fma_f64 v[48:49], v[64:65], -0.5, v[48:49]
	v_fma_f64 v[50:51], v[66:67], -0.5, v[50:51]
	;; [unrolled: 1-line block ×3, first 2 shown]
	v_add_f64_e32 v[2:3], v[4:5], v[6:7]
	v_fma_f64 v[46:47], v[70:71], -0.5, v[46:47]
	v_fma_f64 v[104:105], v[76:77], -0.5, v[40:41]
	;; [unrolled: 1-line block ×3, first 2 shown]
	v_add_f64_e32 v[40:41], v[92:93], v[60:61]
	v_fma_f64 v[98:99], v[72:73], -0.5, v[52:53]
	v_add_f64_e32 v[42:43], v[94:95], v[62:63]
	v_fma_f64 v[100:101], v[74:75], -0.5, v[54:55]
	v_add_f64_e32 v[52:53], v[84:85], v[10:11]
	v_add_f64_e32 v[54:55], v[86:87], v[14:15]
	;; [unrolled: 1-line block ×4, first 2 shown]
	v_fma_f64 v[60:61], v[82:83], s[0:1], v[48:49]
	s_wait_alu 0xfffe
	v_fma_f64 v[64:65], v[82:83], s[8:9], v[48:49]
	v_fma_f64 v[62:63], v[96:97], s[8:9], v[50:51]
	;; [unrolled: 1-line block ×15, first 2 shown]
	ds_store_b128 v204, v[0:3]
	ds_store_b128 v204, v[60:63] offset:2400
	ds_store_b128 v204, v[64:67] offset:4800
	ds_store_b128 v196, v[52:55]
	ds_store_b128 v196, v[68:71] offset:2400
	ds_store_b128 v196, v[72:75] offset:4800
	;; [unrolled: 3-line block ×3, first 2 shown]
	s_and_saveexec_b32 s0, vcc_lo
	s_cbranch_execz .LBB0_21
; %bb.20:
	scratch_load_b32 v0, off, off offset:108 th:TH_LOAD_LU ; 4-byte Folded Reload
	s_wait_loadcnt 0x0
	v_lshlrev_b32_e32 v0, 4, v0
	ds_store_b128 v0, v[40:43] offset:14400
	ds_store_b128 v0, v[44:47] offset:16800
	;; [unrolled: 1-line block ×3, first 2 shown]
.LBB0_21:
	s_wait_alu 0xfffe
	s_or_b32 exec_lo, exec_lo, s0
	global_wb scope:SCOPE_SE
	s_wait_dscnt 0x0
	s_barrier_signal -1
	s_barrier_wait -1
	global_inv scope:SCOPE_SE
	ds_load_b128 v[60:63], v204
	ds_load_b128 v[52:55], v204 offset:2160
	ds_load_b128 v[76:79], v204 offset:14400
	;; [unrolled: 1-line block ×8, first 2 shown]
	s_and_saveexec_b32 s0, vcc_lo
	s_cbranch_execz .LBB0_23
; %bb.22:
	ds_load_b128 v[40:43], v204 offset:6480
	ds_load_b128 v[44:47], v204 offset:13680
	;; [unrolled: 1-line block ×3, first 2 shown]
.LBB0_23:
	s_wait_alu 0xfffe
	s_or_b32 exec_lo, exec_lo, s0
	s_wait_dscnt 0x4
	v_mul_f64_e32 v[0:1], v[150:151], v[86:87]
	v_mul_f64_e32 v[2:3], v[154:155], v[78:79]
	;; [unrolled: 1-line block ×4, first 2 shown]
	s_wait_dscnt 0x2
	v_mul_f64_e32 v[8:9], v[158:159], v[82:83]
	v_mul_f64_e32 v[10:11], v[162:163], v[66:67]
	;; [unrolled: 1-line block ×4, first 2 shown]
	s_wait_dscnt 0x1
	v_mul_f64_e32 v[16:17], v[166:167], v[70:71]
	s_wait_dscnt 0x0
	v_mul_f64_e32 v[18:19], v[170:171], v[74:75]
	v_mul_f64_e32 v[20:21], v[166:167], v[68:69]
	;; [unrolled: 1-line block ×3, first 2 shown]
	s_mov_b32 s0, 0xe8584caa
	s_mov_b32 s1, 0xbfebb67a
	s_wait_alu 0xfffe
	s_mov_b32 s8, s0
	v_fma_f64 v[0:1], v[148:149], v[84:85], v[0:1]
	v_fma_f64 v[2:3], v[152:153], v[76:77], v[2:3]
	v_fma_f64 v[4:5], v[148:149], v[86:87], -v[4:5]
	v_fma_f64 v[6:7], v[152:153], v[78:79], -v[6:7]
	v_fma_f64 v[8:9], v[156:157], v[80:81], v[8:9]
	v_fma_f64 v[10:11], v[160:161], v[64:65], v[10:11]
	v_fma_f64 v[12:13], v[156:157], v[82:83], -v[12:13]
	v_fma_f64 v[14:15], v[160:161], v[66:67], -v[14:15]
	;; [unrolled: 4-line block ×3, first 2 shown]
	v_add_f64_e32 v[76:77], v[60:61], v[0:1]
	v_add_f64_e32 v[64:65], v[0:1], v[2:3]
	v_add_f64_e64 v[88:89], v[0:1], -v[2:3]
	v_add_f64_e32 v[66:67], v[4:5], v[6:7]
	v_add_f64_e64 v[78:79], v[4:5], -v[6:7]
	v_add_f64_e32 v[68:69], v[8:9], v[10:11]
	v_add_f64_e32 v[4:5], v[62:63], v[4:5]
	;; [unrolled: 1-line block ×7, first 2 shown]
	v_add_f64_e64 v[12:13], v[12:13], -v[14:15]
	v_add_f64_e64 v[8:9], v[8:9], -v[10:11]
	v_add_f64_e32 v[84:85], v[56:57], v[16:17]
	v_add_f64_e32 v[86:87], v[58:59], v[20:21]
	v_add_f64_e64 v[20:21], v[20:21], -v[22:23]
	v_add_f64_e64 v[16:17], v[16:17], -v[18:19]
	v_add_f64_e32 v[0:1], v[76:77], v[2:3]
	v_fma_f64 v[64:65], v[64:65], -0.5, v[60:61]
	v_fma_f64 v[66:67], v[66:67], -0.5, v[62:63]
	;; [unrolled: 1-line block ×3, first 2 shown]
	v_add_f64_e32 v[2:3], v[4:5], v[6:7]
	v_fma_f64 v[70:71], v[70:71], -0.5, v[54:55]
	v_add_f64_e32 v[52:53], v[80:81], v[10:11]
	v_fma_f64 v[92:93], v[72:73], -0.5, v[56:57]
	;; [unrolled: 2-line block ×3, first 2 shown]
	v_add_f64_e32 v[56:57], v[84:85], v[18:19]
	v_add_f64_e32 v[58:59], v[86:87], v[22:23]
	v_fma_f64 v[60:61], v[78:79], s[0:1], v[64:65]
	s_wait_alu 0xfffe
	v_fma_f64 v[64:65], v[78:79], s[8:9], v[64:65]
	v_fma_f64 v[62:63], v[88:89], s[8:9], v[66:67]
	;; [unrolled: 1-line block ×11, first 2 shown]
	ds_store_b128 v204, v[0:3]
	ds_store_b128 v204, v[52:55] offset:2160
	ds_store_b128 v204, v[64:67] offset:14400
	;; [unrolled: 1-line block ×8, first 2 shown]
	s_and_saveexec_b32 s10, vcc_lo
	s_cbranch_execz .LBB0_25
; %bb.24:
	v_mul_f64_e32 v[0:1], v[142:143], v[44:45]
	v_mul_f64_e32 v[2:3], v[146:147], v[48:49]
	;; [unrolled: 1-line block ×4, first 2 shown]
	s_delay_alu instid0(VALU_DEP_4) | instskip(NEXT) | instid1(VALU_DEP_4)
	v_fma_f64 v[0:1], v[140:141], v[46:47], -v[0:1]
	v_fma_f64 v[2:3], v[144:145], v[50:51], -v[2:3]
	s_delay_alu instid0(VALU_DEP_4) | instskip(NEXT) | instid1(VALU_DEP_4)
	v_fma_f64 v[4:5], v[140:141], v[44:45], v[4:5]
	v_fma_f64 v[6:7], v[144:145], v[48:49], v[6:7]
	s_delay_alu instid0(VALU_DEP_4) | instskip(NEXT) | instid1(VALU_DEP_4)
	v_add_f64_e32 v[14:15], v[42:43], v[0:1]
	v_add_f64_e32 v[8:9], v[0:1], v[2:3]
	v_add_f64_e64 v[16:17], v[0:1], -v[2:3]
	s_delay_alu instid0(VALU_DEP_4)
	v_add_f64_e32 v[10:11], v[4:5], v[6:7]
	v_add_f64_e64 v[12:13], v[4:5], -v[6:7]
	v_add_f64_e32 v[4:5], v[40:41], v[4:5]
	v_add_f64_e32 v[2:3], v[14:15], v[2:3]
	v_fma_f64 v[8:9], v[8:9], -0.5, v[42:43]
	v_fma_f64 v[10:11], v[10:11], -0.5, v[40:41]
	s_delay_alu instid0(VALU_DEP_4) | instskip(NEXT) | instid1(VALU_DEP_3)
	v_add_f64_e32 v[0:1], v[4:5], v[6:7]
	v_fma_f64 v[46:47], v[12:13], s[8:9], v[8:9]
	v_fma_f64 v[42:43], v[12:13], s[0:1], v[8:9]
	s_delay_alu instid0(VALU_DEP_4)
	v_fma_f64 v[44:45], v[16:17], s[0:1], v[10:11]
	v_fma_f64 v[40:41], v[16:17], s[8:9], v[10:11]
	ds_store_b128 v204, v[0:3] offset:6480
	ds_store_b128 v204, v[44:47] offset:13680
	;; [unrolled: 1-line block ×3, first 2 shown]
.LBB0_25:
	s_wait_alu 0xfffe
	s_or_b32 exec_lo, exec_lo, s10
	global_wb scope:SCOPE_SE
	s_wait_dscnt 0x0
	s_barrier_signal -1
	s_barrier_wait -1
	global_inv scope:SCOPE_SE
	ds_load_b128 v[0:3], v204
	ds_load_b128 v[40:43], v204 offset:4320
	ds_load_b128 v[44:47], v204 offset:8640
	;; [unrolled: 1-line block ×3, first 2 shown]
	scratch_load_b64 v[4:5], off, off th:TH_LOAD_LU ; 8-byte Folded Reload
	ds_load_b128 v[52:55], v204 offset:17280
	ds_load_b128 v[56:59], v204 offset:2160
	;; [unrolled: 1-line block ×6, first 2 shown]
	s_clause 0x2
	scratch_load_b128 v[100:103], off, off offset:40 th:TH_LOAD_LU
	scratch_load_b128 v[94:97], off, off offset:8 th:TH_LOAD_LU
	scratch_load_b128 v[106:109], off, off offset:72 th:TH_LOAD_LU
	v_mad_co_u64_u32 v[6:7], null, s4, v203, 0
	s_mul_u64 s[0:1], s[4:5], 0x10e0
	s_wait_dscnt 0x7
	v_mul_f64_e32 v[16:17], v[26:27], v[46:47]
	v_mul_f64_e32 v[18:19], v[26:27], v[44:45]
	s_wait_dscnt 0x2
	v_mul_f64_e32 v[88:89], v[30:31], v[66:67]
	v_mul_f64_e32 v[30:31], v[30:31], v[64:65]
	s_wait_dscnt 0x1
	v_mul_f64_e32 v[90:91], v[34:35], v[70:71]
	v_mul_f64_e32 v[34:35], v[34:35], v[68:69]
	s_wait_dscnt 0x0
	v_mul_f64_e32 v[92:93], v[38:39], v[74:75]
	v_mul_f64_e32 v[38:39], v[38:39], v[72:73]
	v_fma_f64 v[30:31], v[28:29], v[66:67], -v[30:31]
	s_delay_alu instid0(VALU_DEP_4) | instskip(NEXT) | instid1(VALU_DEP_3)
	v_fma_f64 v[34:35], v[32:33], v[70:71], -v[34:35]
	v_fma_f64 v[38:39], v[36:37], v[74:75], -v[38:39]
	s_wait_loadcnt 0x3
	v_mov_b32_e32 v78, v4
	s_wait_loadcnt 0x2
	v_mul_f64_e32 v[8:9], v[102:103], v[2:3]
	v_mul_f64_e32 v[10:11], v[102:103], v[0:1]
	s_wait_loadcnt 0x1
	v_mul_f64_e32 v[20:21], v[96:97], v[50:51]
	v_mul_f64_e32 v[22:23], v[96:97], v[48:49]
	s_clause 0x1
	scratch_load_b128 v[96:99], off, off offset:24 th:TH_LOAD_LU
	scratch_load_b128 v[102:105], off, off offset:56 th:TH_LOAD_LU
	s_wait_loadcnt 0x2
	v_mul_f64_e32 v[12:13], v[108:109], v[42:43]
	v_mul_f64_e32 v[14:15], v[108:109], v[40:41]
	scratch_load_b128 v[108:111], off, off offset:88 th:TH_LOAD_LU ; 16-byte Folded Reload
	v_mad_co_u64_u32 v[4:5], null, s6, v78, 0
	s_delay_alu instid0(VALU_DEP_1) | instskip(NEXT) | instid1(VALU_DEP_1)
	v_mad_co_u64_u32 v[78:79], null, s7, v78, v[5:6]
	v_mov_b32_e32 v5, v78
	s_delay_alu instid0(VALU_DEP_1) | instskip(NEXT) | instid1(VALU_DEP_1)
	v_lshlrev_b64_e32 v[4:5], 4, v[4:5]
	v_add_co_u32 v4, vcc_lo, s2, v4
	v_mad_co_u64_u32 v[79:80], null, s5, v203, v[7:8]
	v_fma_f64 v[0:1], v[100:101], v[0:1], v[8:9]
	v_fma_f64 v[2:3], v[100:101], v[2:3], -v[10:11]
	s_wait_alu 0xfffd
	v_add_co_ci_u32_e32 v5, vcc_lo, s3, v5, vcc_lo
	v_fma_f64 v[8:9], v[106:107], v[40:41], v[12:13]
	v_fma_f64 v[10:11], v[106:107], v[42:43], -v[14:15]
	v_fma_f64 v[12:13], v[24:25], v[44:45], v[16:17]
	v_fma_f64 v[14:15], v[24:25], v[46:47], -v[18:19]
	;; [unrolled: 2-line block ×3, first 2 shown]
	v_fma_f64 v[46:47], v[28:29], v[64:65], v[88:89]
	v_fma_f64 v[48:49], v[32:33], v[68:69], v[90:91]
	;; [unrolled: 1-line block ×3, first 2 shown]
	v_mov_b32_e32 v7, v79
	s_mov_b32 s2, 0xa0ce5129
	s_mov_b32 s3, 0x3f4845c8
	s_wait_alu 0xfffe
	v_mul_f64_e32 v[30:31], s[2:3], v[30:31]
	v_lshlrev_b64_e32 v[6:7], 4, v[6:7]
	v_mul_f64_e32 v[34:35], s[2:3], v[34:35]
	v_mul_f64_e32 v[38:39], s[2:3], v[38:39]
	s_delay_alu instid0(VALU_DEP_3) | instskip(SKIP_1) | instid1(VALU_DEP_4)
	v_add_co_u32 v40, vcc_lo, v4, v6
	s_wait_alu 0xfffd
	v_add_co_ci_u32_e32 v41, vcc_lo, v5, v7, vcc_lo
	v_mul_f64_e32 v[0:1], s[2:3], v[0:1]
	v_mul_f64_e32 v[2:3], s[2:3], v[2:3]
	;; [unrolled: 1-line block ×11, first 2 shown]
	s_wait_loadcnt 0x2
	v_mul_f64_e32 v[26:27], v[98:99], v[54:55]
	v_mul_f64_e32 v[76:77], v[98:99], v[52:53]
	s_wait_loadcnt 0x1
	v_mul_f64_e32 v[80:81], v[104:105], v[58:59]
	v_mul_f64_e32 v[82:83], v[104:105], v[56:57]
	;; [unrolled: 3-line block ×3, first 2 shown]
	v_fma_f64 v[20:21], v[96:97], v[52:53], v[26:27]
	v_fma_f64 v[22:23], v[96:97], v[54:55], -v[76:77]
	v_fma_f64 v[24:25], v[102:103], v[56:57], v[80:81]
	v_fma_f64 v[26:27], v[102:103], v[58:59], -v[82:83]
	;; [unrolled: 2-line block ×3, first 2 shown]
	v_add_co_u32 v52, vcc_lo, v40, s0
	s_wait_alu 0xfffd
	v_add_co_ci_u32_e32 v53, vcc_lo, s1, v41, vcc_lo
	s_delay_alu instid0(VALU_DEP_2) | instskip(SKIP_1) | instid1(VALU_DEP_2)
	v_add_co_u32 v54, vcc_lo, v52, s0
	s_wait_alu 0xfffd
	v_add_co_ci_u32_e32 v55, vcc_lo, s1, v53, vcc_lo
	s_delay_alu instid0(VALU_DEP_2) | instskip(SKIP_1) | instid1(VALU_DEP_2)
	v_add_co_u32 v56, vcc_lo, v54, s0
	s_wait_alu 0xfffd
	v_add_co_ci_u32_e32 v57, vcc_lo, s1, v55, vcc_lo
	s_clause 0x3
	global_store_b128 v[40:41], v[0:3], off
	global_store_b128 v[52:53], v[4:7], off
	;; [unrolled: 1-line block ×4, first 2 shown]
	v_add_co_u32 v58, vcc_lo, v56, s0
	s_wait_alu 0xfffd
	v_add_co_ci_u32_e32 v59, vcc_lo, s1, v57, vcc_lo
	v_mul_f64_e32 v[16:17], s[2:3], v[20:21]
	v_mul_f64_e32 v[18:19], s[2:3], v[22:23]
	;; [unrolled: 1-line block ×6, first 2 shown]
	v_mad_co_u64_u32 v[42:43], null, 0xffffc4f0, s4, v[58:59]
	s_mul_i32 s2, s5, 0xffffc4f0
	s_wait_alu 0xfffe
	s_sub_co_i32 s2, s2, s4
	s_wait_alu 0xfffe
	s_delay_alu instid0(VALU_DEP_1) | instskip(NEXT) | instid1(VALU_DEP_2)
	v_add_nc_u32_e32 v43, s2, v43
	v_add_co_u32 v44, vcc_lo, v42, s0
	s_wait_alu 0xfffd
	s_delay_alu instid0(VALU_DEP_2) | instskip(NEXT) | instid1(VALU_DEP_2)
	v_add_co_ci_u32_e32 v45, vcc_lo, s1, v43, vcc_lo
	v_add_co_u32 v46, vcc_lo, v44, s0
	s_wait_alu 0xfffd
	s_delay_alu instid0(VALU_DEP_2) | instskip(NEXT) | instid1(VALU_DEP_2)
	v_add_co_ci_u32_e32 v47, vcc_lo, s1, v45, vcc_lo
	;; [unrolled: 4-line block ×3, first 2 shown]
	v_add_co_u32 v2, vcc_lo, v0, s0
	s_wait_alu 0xfffd
	s_delay_alu instid0(VALU_DEP_2)
	v_add_co_ci_u32_e32 v3, vcc_lo, s1, v1, vcc_lo
	global_store_b128 v[58:59], v[16:19], off
	global_store_b128 v[42:43], v[20:23], off
	;; [unrolled: 1-line block ×6, first 2 shown]
.LBB0_26:
	s_nop 0
	s_sendmsg sendmsg(MSG_DEALLOC_VGPRS)
	s_endpgm
	.section	.rodata,"a",@progbits
	.p2align	6, 0x0
	.amdhsa_kernel bluestein_single_fwd_len1350_dim1_dp_op_CI_CI
		.amdhsa_group_segment_fixed_size 21600
		.amdhsa_private_segment_fixed_size 116
		.amdhsa_kernarg_size 104
		.amdhsa_user_sgpr_count 2
		.amdhsa_user_sgpr_dispatch_ptr 0
		.amdhsa_user_sgpr_queue_ptr 0
		.amdhsa_user_sgpr_kernarg_segment_ptr 1
		.amdhsa_user_sgpr_dispatch_id 0
		.amdhsa_user_sgpr_private_segment_size 0
		.amdhsa_wavefront_size32 1
		.amdhsa_uses_dynamic_stack 0
		.amdhsa_enable_private_segment 1
		.amdhsa_system_sgpr_workgroup_id_x 1
		.amdhsa_system_sgpr_workgroup_id_y 0
		.amdhsa_system_sgpr_workgroup_id_z 0
		.amdhsa_system_sgpr_workgroup_info 0
		.amdhsa_system_vgpr_workitem_id 0
		.amdhsa_next_free_vgpr 256
		.amdhsa_next_free_sgpr 22
		.amdhsa_reserve_vcc 1
		.amdhsa_float_round_mode_32 0
		.amdhsa_float_round_mode_16_64 0
		.amdhsa_float_denorm_mode_32 3
		.amdhsa_float_denorm_mode_16_64 3
		.amdhsa_fp16_overflow 0
		.amdhsa_workgroup_processor_mode 1
		.amdhsa_memory_ordered 1
		.amdhsa_forward_progress 0
		.amdhsa_round_robin_scheduling 0
		.amdhsa_exception_fp_ieee_invalid_op 0
		.amdhsa_exception_fp_denorm_src 0
		.amdhsa_exception_fp_ieee_div_zero 0
		.amdhsa_exception_fp_ieee_overflow 0
		.amdhsa_exception_fp_ieee_underflow 0
		.amdhsa_exception_fp_ieee_inexact 0
		.amdhsa_exception_int_div_zero 0
	.end_amdhsa_kernel
	.text
.Lfunc_end0:
	.size	bluestein_single_fwd_len1350_dim1_dp_op_CI_CI, .Lfunc_end0-bluestein_single_fwd_len1350_dim1_dp_op_CI_CI
                                        ; -- End function
	.section	.AMDGPU.csdata,"",@progbits
; Kernel info:
; codeLenInByte = 15124
; NumSgprs: 24
; NumVgprs: 256
; ScratchSize: 116
; MemoryBound: 0
; FloatMode: 240
; IeeeMode: 1
; LDSByteSize: 21600 bytes/workgroup (compile time only)
; SGPRBlocks: 2
; VGPRBlocks: 31
; NumSGPRsForWavesPerEU: 24
; NumVGPRsForWavesPerEU: 256
; Occupancy: 5
; WaveLimiterHint : 1
; COMPUTE_PGM_RSRC2:SCRATCH_EN: 1
; COMPUTE_PGM_RSRC2:USER_SGPR: 2
; COMPUTE_PGM_RSRC2:TRAP_HANDLER: 0
; COMPUTE_PGM_RSRC2:TGID_X_EN: 1
; COMPUTE_PGM_RSRC2:TGID_Y_EN: 0
; COMPUTE_PGM_RSRC2:TGID_Z_EN: 0
; COMPUTE_PGM_RSRC2:TIDIG_COMP_CNT: 0
	.text
	.p2alignl 7, 3214868480
	.fill 96, 4, 3214868480
	.type	__hip_cuid_c3f7e67b4ba075a,@object ; @__hip_cuid_c3f7e67b4ba075a
	.section	.bss,"aw",@nobits
	.globl	__hip_cuid_c3f7e67b4ba075a
__hip_cuid_c3f7e67b4ba075a:
	.byte	0                               ; 0x0
	.size	__hip_cuid_c3f7e67b4ba075a, 1

	.ident	"AMD clang version 19.0.0git (https://github.com/RadeonOpenCompute/llvm-project roc-6.4.0 25133 c7fe45cf4b819c5991fe208aaa96edf142730f1d)"
	.section	".note.GNU-stack","",@progbits
	.addrsig
	.addrsig_sym __hip_cuid_c3f7e67b4ba075a
	.amdgpu_metadata
---
amdhsa.kernels:
  - .args:
      - .actual_access:  read_only
        .address_space:  global
        .offset:         0
        .size:           8
        .value_kind:     global_buffer
      - .actual_access:  read_only
        .address_space:  global
        .offset:         8
        .size:           8
        .value_kind:     global_buffer
      - .actual_access:  read_only
        .address_space:  global
        .offset:         16
        .size:           8
        .value_kind:     global_buffer
      - .actual_access:  read_only
        .address_space:  global
        .offset:         24
        .size:           8
        .value_kind:     global_buffer
      - .actual_access:  read_only
        .address_space:  global
        .offset:         32
        .size:           8
        .value_kind:     global_buffer
      - .offset:         40
        .size:           8
        .value_kind:     by_value
      - .address_space:  global
        .offset:         48
        .size:           8
        .value_kind:     global_buffer
      - .address_space:  global
        .offset:         56
        .size:           8
        .value_kind:     global_buffer
      - .address_space:  global
        .offset:         64
        .size:           8
        .value_kind:     global_buffer
      - .address_space:  global
        .offset:         72
        .size:           8
        .value_kind:     global_buffer
      - .offset:         80
        .size:           4
        .value_kind:     by_value
      - .address_space:  global
        .offset:         88
        .size:           8
        .value_kind:     global_buffer
      - .address_space:  global
        .offset:         96
        .size:           8
        .value_kind:     global_buffer
    .group_segment_fixed_size: 21600
    .kernarg_segment_align: 8
    .kernarg_segment_size: 104
    .language:       OpenCL C
    .language_version:
      - 2
      - 0
    .max_flat_workgroup_size: 135
    .name:           bluestein_single_fwd_len1350_dim1_dp_op_CI_CI
    .private_segment_fixed_size: 116
    .sgpr_count:     24
    .sgpr_spill_count: 0
    .symbol:         bluestein_single_fwd_len1350_dim1_dp_op_CI_CI.kd
    .uniform_work_group_size: 1
    .uses_dynamic_stack: false
    .vgpr_count:     256
    .vgpr_spill_count: 28
    .wavefront_size: 32
    .workgroup_processor_mode: 1
amdhsa.target:   amdgcn-amd-amdhsa--gfx1201
amdhsa.version:
  - 1
  - 2
...

	.end_amdgpu_metadata
